;; amdgpu-corpus repo=zjin-lcf/HeCBench kind=compiled arch=gfx1030 opt=O3
	.amdgcn_target "amdgcn-amd-amdhsa--gfx1030"
	.amdhsa_code_object_version 6
	.text
	.protected	_Z17initialize_bufferPffi ; -- Begin function _Z17initialize_bufferPffi
	.globl	_Z17initialize_bufferPffi
	.p2align	8
	.type	_Z17initialize_bufferPffi,@function
_Z17initialize_bufferPffi:              ; @_Z17initialize_bufferPffi
; %bb.0:
	s_clause 0x1
	s_load_dword s2, s[4:5], 0x1c
	s_load_dwordx2 s[0:1], s[4:5], 0x8
	s_waitcnt lgkmcnt(0)
	s_and_b32 s2, s2, 0xffff
	v_mad_u64_u32 v[0:1], null, s6, s2, v[0:1]
	v_cmp_gt_i32_e32 vcc_lo, s1, v0
	s_and_saveexec_b32 s1, vcc_lo
	s_cbranch_execz .LBB0_2
; %bb.1:
	s_load_dwordx2 s[2:3], s[4:5], 0x0
	v_ashrrev_i32_e32 v1, 31, v0
	v_mov_b32_e32 v2, s0
	v_lshlrev_b64 v[0:1], 2, v[0:1]
	s_waitcnt lgkmcnt(0)
	v_add_co_u32 v0, vcc_lo, s2, v0
	v_add_co_ci_u32_e64 v1, null, s3, v1, vcc_lo
	global_store_dword v[0:1], v2, off
.LBB0_2:
	s_endpgm
	.section	.rodata,"a",@progbits
	.p2align	6, 0x0
	.amdhsa_kernel _Z17initialize_bufferPffi
		.amdhsa_group_segment_fixed_size 0
		.amdhsa_private_segment_fixed_size 0
		.amdhsa_kernarg_size 272
		.amdhsa_user_sgpr_count 6
		.amdhsa_user_sgpr_private_segment_buffer 1
		.amdhsa_user_sgpr_dispatch_ptr 0
		.amdhsa_user_sgpr_queue_ptr 0
		.amdhsa_user_sgpr_kernarg_segment_ptr 1
		.amdhsa_user_sgpr_dispatch_id 0
		.amdhsa_user_sgpr_flat_scratch_init 0
		.amdhsa_user_sgpr_private_segment_size 0
		.amdhsa_wavefront_size32 1
		.amdhsa_uses_dynamic_stack 0
		.amdhsa_system_sgpr_private_segment_wavefront_offset 0
		.amdhsa_system_sgpr_workgroup_id_x 1
		.amdhsa_system_sgpr_workgroup_id_y 0
		.amdhsa_system_sgpr_workgroup_id_z 0
		.amdhsa_system_sgpr_workgroup_info 0
		.amdhsa_system_vgpr_workitem_id 0
		.amdhsa_next_free_vgpr 3
		.amdhsa_next_free_sgpr 7
		.amdhsa_reserve_vcc 1
		.amdhsa_reserve_flat_scratch 0
		.amdhsa_float_round_mode_32 0
		.amdhsa_float_round_mode_16_64 0
		.amdhsa_float_denorm_mode_32 3
		.amdhsa_float_denorm_mode_16_64 3
		.amdhsa_dx10_clamp 1
		.amdhsa_ieee_mode 1
		.amdhsa_fp16_overflow 0
		.amdhsa_workgroup_processor_mode 1
		.amdhsa_memory_ordered 1
		.amdhsa_forward_progress 1
		.amdhsa_shared_vgpr_count 0
		.amdhsa_exception_fp_ieee_invalid_op 0
		.amdhsa_exception_fp_denorm_src 0
		.amdhsa_exception_fp_ieee_div_zero 0
		.amdhsa_exception_fp_ieee_overflow 0
		.amdhsa_exception_fp_ieee_underflow 0
		.amdhsa_exception_fp_ieee_inexact 0
		.amdhsa_exception_int_div_zero 0
	.end_amdhsa_kernel
	.text
.Lfunc_end0:
	.size	_Z17initialize_bufferPffi, .Lfunc_end0-_Z17initialize_bufferPffi
                                        ; -- End function
	.set _Z17initialize_bufferPffi.num_vgpr, 3
	.set _Z17initialize_bufferPffi.num_agpr, 0
	.set _Z17initialize_bufferPffi.numbered_sgpr, 7
	.set _Z17initialize_bufferPffi.num_named_barrier, 0
	.set _Z17initialize_bufferPffi.private_seg_size, 0
	.set _Z17initialize_bufferPffi.uses_vcc, 1
	.set _Z17initialize_bufferPffi.uses_flat_scratch, 0
	.set _Z17initialize_bufferPffi.has_dyn_sized_stack, 0
	.set _Z17initialize_bufferPffi.has_recursion, 0
	.set _Z17initialize_bufferPffi.has_indirect_call, 0
	.section	.AMDGPU.csdata,"",@progbits
; Kernel info:
; codeLenInByte = 108
; TotalNumSgprs: 9
; NumVgprs: 3
; ScratchSize: 0
; MemoryBound: 0
; FloatMode: 240
; IeeeMode: 1
; LDSByteSize: 0 bytes/workgroup (compile time only)
; SGPRBlocks: 0
; VGPRBlocks: 0
; NumSGPRsForWavesPerEU: 9
; NumVGPRsForWavesPerEU: 3
; Occupancy: 16
; WaveLimiterHint : 0
; COMPUTE_PGM_RSRC2:SCRATCH_EN: 0
; COMPUTE_PGM_RSRC2:USER_SGPR: 6
; COMPUTE_PGM_RSRC2:TRAP_HANDLER: 0
; COMPUTE_PGM_RSRC2:TGID_X_EN: 1
; COMPUTE_PGM_RSRC2:TGID_Y_EN: 0
; COMPUTE_PGM_RSRC2:TGID_Z_EN: 0
; COMPUTE_PGM_RSRC2:TIDIG_COMP_CNT: 0
	.text
	.protected	_Z20initialize_variablesiPfPKf ; -- Begin function _Z20initialize_variablesiPfPKf
	.globl	_Z20initialize_variablesiPfPKf
	.p2align	8
	.type	_Z20initialize_variablesiPfPKf,@function
_Z20initialize_variablesiPfPKf:         ; @_Z20initialize_variablesiPfPKf
; %bb.0:
	s_clause 0x1
	s_load_dword s7, s[4:5], 0x24
	s_load_dwordx4 s[0:3], s[4:5], 0x8
	v_mov_b32_e32 v4, 0
	s_load_dword s4, s[4:5], 0x0
	s_waitcnt lgkmcnt(0)
	s_and_b32 s7, s7, 0xffff
	v_mad_u64_u32 v[0:1], null, s6, s7, v[0:1]
	s_load_dword s6, s[2:3], 0x0
	s_ashr_i32 s5, s4, 31
	v_ashrrev_i32_e32 v1, 31, v0
	v_lshlrev_b64 v[1:2], 2, v[0:1]
	v_add3_u32 v0, s4, s4, v0
	v_add_co_u32 v1, vcc_lo, s0, v1
	v_add_co_ci_u32_e64 v2, null, s1, v2, vcc_lo
	s_waitcnt lgkmcnt(0)
	v_mov_b32_e32 v3, s6
	s_lshl_b64 s[6:7], s[4:5], 2
	global_store_dword v[1:2], v3, off
	global_load_dword v3, v4, s[2:3] offset:4
	v_add_co_u32 v1, vcc_lo, v1, s6
	v_add_co_ci_u32_e64 v2, null, s7, v2, vcc_lo
	s_waitcnt vmcnt(0)
	global_store_dword v[1:2], v3, off
	global_load_dword v3, v4, s[2:3] offset:8
	v_ashrrev_i32_e32 v1, 31, v0
	v_lshlrev_b64 v[1:2], 2, v[0:1]
	v_add_nc_u32_e32 v0, s4, v0
	v_add_co_u32 v1, vcc_lo, s0, v1
	v_add_co_ci_u32_e64 v2, null, s1, v2, vcc_lo
	s_waitcnt vmcnt(0)
	global_store_dword v[1:2], v3, off
	global_load_dword v3, v4, s[2:3] offset:12
	v_ashrrev_i32_e32 v1, 31, v0
	v_lshlrev_b64 v[1:2], 2, v[0:1]
	v_add_nc_u32_e32 v0, s4, v0
	v_add_co_u32 v1, vcc_lo, s0, v1
	v_add_co_ci_u32_e64 v2, null, s1, v2, vcc_lo
	s_waitcnt vmcnt(0)
	global_store_dword v[1:2], v3, off
	global_load_dword v2, v4, s[2:3] offset:16
	v_ashrrev_i32_e32 v1, 31, v0
	v_lshlrev_b64 v[0:1], 2, v[0:1]
	v_add_co_u32 v0, vcc_lo, s0, v0
	v_add_co_ci_u32_e64 v1, null, s1, v1, vcc_lo
	s_waitcnt vmcnt(0)
	global_store_dword v[0:1], v2, off
	s_endpgm
	.section	.rodata,"a",@progbits
	.p2align	6, 0x0
	.amdhsa_kernel _Z20initialize_variablesiPfPKf
		.amdhsa_group_segment_fixed_size 0
		.amdhsa_private_segment_fixed_size 0
		.amdhsa_kernarg_size 280
		.amdhsa_user_sgpr_count 6
		.amdhsa_user_sgpr_private_segment_buffer 1
		.amdhsa_user_sgpr_dispatch_ptr 0
		.amdhsa_user_sgpr_queue_ptr 0
		.amdhsa_user_sgpr_kernarg_segment_ptr 1
		.amdhsa_user_sgpr_dispatch_id 0
		.amdhsa_user_sgpr_flat_scratch_init 0
		.amdhsa_user_sgpr_private_segment_size 0
		.amdhsa_wavefront_size32 1
		.amdhsa_uses_dynamic_stack 0
		.amdhsa_system_sgpr_private_segment_wavefront_offset 0
		.amdhsa_system_sgpr_workgroup_id_x 1
		.amdhsa_system_sgpr_workgroup_id_y 0
		.amdhsa_system_sgpr_workgroup_id_z 0
		.amdhsa_system_sgpr_workgroup_info 0
		.amdhsa_system_vgpr_workitem_id 0
		.amdhsa_next_free_vgpr 5
		.amdhsa_next_free_sgpr 8
		.amdhsa_reserve_vcc 1
		.amdhsa_reserve_flat_scratch 0
		.amdhsa_float_round_mode_32 0
		.amdhsa_float_round_mode_16_64 0
		.amdhsa_float_denorm_mode_32 3
		.amdhsa_float_denorm_mode_16_64 3
		.amdhsa_dx10_clamp 1
		.amdhsa_ieee_mode 1
		.amdhsa_fp16_overflow 0
		.amdhsa_workgroup_processor_mode 1
		.amdhsa_memory_ordered 1
		.amdhsa_forward_progress 1
		.amdhsa_shared_vgpr_count 0
		.amdhsa_exception_fp_ieee_invalid_op 0
		.amdhsa_exception_fp_denorm_src 0
		.amdhsa_exception_fp_ieee_div_zero 0
		.amdhsa_exception_fp_ieee_overflow 0
		.amdhsa_exception_fp_ieee_underflow 0
		.amdhsa_exception_fp_ieee_inexact 0
		.amdhsa_exception_int_div_zero 0
	.end_amdhsa_kernel
	.text
.Lfunc_end1:
	.size	_Z20initialize_variablesiPfPKf, .Lfunc_end1-_Z20initialize_variablesiPfPKf
                                        ; -- End function
	.set _Z20initialize_variablesiPfPKf.num_vgpr, 5
	.set _Z20initialize_variablesiPfPKf.num_agpr, 0
	.set _Z20initialize_variablesiPfPKf.numbered_sgpr, 8
	.set _Z20initialize_variablesiPfPKf.num_named_barrier, 0
	.set _Z20initialize_variablesiPfPKf.private_seg_size, 0
	.set _Z20initialize_variablesiPfPKf.uses_vcc, 1
	.set _Z20initialize_variablesiPfPKf.uses_flat_scratch, 0
	.set _Z20initialize_variablesiPfPKf.has_dyn_sized_stack, 0
	.set _Z20initialize_variablesiPfPKf.has_recursion, 0
	.set _Z20initialize_variablesiPfPKf.has_indirect_call, 0
	.section	.AMDGPU.csdata,"",@progbits
; Kernel info:
; codeLenInByte = 312
; TotalNumSgprs: 10
; NumVgprs: 5
; ScratchSize: 0
; MemoryBound: 0
; FloatMode: 240
; IeeeMode: 1
; LDSByteSize: 0 bytes/workgroup (compile time only)
; SGPRBlocks: 0
; VGPRBlocks: 0
; NumSGPRsForWavesPerEU: 10
; NumVGPRsForWavesPerEU: 5
; Occupancy: 16
; WaveLimiterHint : 0
; COMPUTE_PGM_RSRC2:SCRATCH_EN: 0
; COMPUTE_PGM_RSRC2:USER_SGPR: 6
; COMPUTE_PGM_RSRC2:TRAP_HANDLER: 0
; COMPUTE_PGM_RSRC2:TGID_X_EN: 1
; COMPUTE_PGM_RSRC2:TGID_Y_EN: 0
; COMPUTE_PGM_RSRC2:TGID_Z_EN: 0
; COMPUTE_PGM_RSRC2:TIDIG_COMP_CNT: 0
	.text
	.protected	_Z19compute_step_factoriPfS_S_ ; -- Begin function _Z19compute_step_factoriPfS_S_
	.globl	_Z19compute_step_factoriPfS_S_
	.p2align	8
	.type	_Z19compute_step_factoriPfS_S_,@function
_Z19compute_step_factoriPfS_S_:         ; @_Z19compute_step_factoriPfS_S_
; %bb.0:
	s_clause 0x1
	s_load_dword s0, s[4:5], 0x2c
	s_load_dword s8, s[4:5], 0x0
	s_waitcnt lgkmcnt(0)
	s_and_b32 s0, s0, 0xffff
	v_mad_u64_u32 v[0:1], null, s6, s0, v[0:1]
	s_mov_b32 s0, exec_lo
	v_cmpx_gt_i32_e64 s8, v0
	s_cbranch_execz .LBB2_2
; %bb.1:
	s_load_dwordx4 s[0:3], s[4:5], 0x8
	v_add3_u32 v2, s8, s8, v0
	v_ashrrev_i32_e32 v1, 31, v0
	s_ashr_i32 s9, s8, 31
	s_load_dwordx2 s[4:5], s[4:5], 0x18
	s_lshl_b64 s[6:7], s[8:9], 2
	v_add_nc_u32_e32 v4, s8, v2
	v_lshlrev_b64 v[0:1], 2, v[0:1]
	v_ashrrev_i32_e32 v3, 31, v2
	v_ashrrev_i32_e32 v5, 31, v4
	v_lshlrev_b64 v[2:3], 2, v[2:3]
	v_lshlrev_b64 v[8:9], 2, v[4:5]
	s_waitcnt lgkmcnt(0)
	v_add_co_u32 v6, vcc_lo, s0, v0
	v_add_co_ci_u32_e64 v7, null, s1, v1, vcc_lo
	v_add_co_u32 v10, vcc_lo, v6, s6
	v_add_co_ci_u32_e64 v11, null, s7, v7, vcc_lo
	;; [unrolled: 2-line block ×3, first 2 shown]
	v_add_co_u32 v5, vcc_lo, s0, v8
	s_clause 0x1
	global_load_dword v7, v[6:7], off
	global_load_dword v10, v[10:11], off
	v_add_co_ci_u32_e64 v6, null, s1, v9, vcc_lo
	s_clause 0x1
	global_load_dword v8, v[2:3], off
	global_load_dword v5, v[5:6], off
	v_add_nc_u32_e32 v2, s8, v4
	v_ashrrev_i32_e32 v3, 31, v2
	v_lshlrev_b64 v[2:3], 2, v[2:3]
	v_add_co_u32 v2, vcc_lo, s0, v2
	v_add_co_ci_u32_e64 v3, null, s1, v3, vcc_lo
	global_load_dword v4, v[2:3], off
	v_add_co_u32 v2, vcc_lo, s2, v0
	v_add_co_ci_u32_e64 v3, null, s3, v1, vcc_lo
	global_load_dword v2, v[2:3], off
	s_waitcnt vmcnt(4)
	v_div_scale_f32 v3, null, v7, v7, v10
	v_div_scale_f32 v15, vcc_lo, v10, v7, v10
	s_waitcnt vmcnt(3)
	v_div_scale_f32 v6, null, v7, v7, v8
	v_rcp_f32_e32 v9, v3
	s_waitcnt vmcnt(2)
	v_div_scale_f32 v11, null, v7, v7, v5
	v_rcp_f32_e32 v12, v6
	v_div_scale_f32 v17, s0, v8, v7, v8
	v_rcp_f32_e32 v13, v11
	v_fma_f32 v14, -v3, v9, 1.0
	v_fma_f32 v16, -v6, v12, 1.0
	v_fmac_f32_e32 v9, v14, v9
	v_fma_f32 v14, -v11, v13, 1.0
	v_fmac_f32_e32 v12, v16, v12
	v_div_scale_f32 v16, s1, v5, v7, v5
	v_mul_f32_e32 v18, v15, v9
	v_fmac_f32_e32 v13, v14, v13
	v_mul_f32_e32 v14, v17, v12
	v_fma_f32 v19, -v3, v18, v15
	v_mul_f32_e32 v20, v16, v13
	v_fma_f32 v21, -v6, v14, v17
	v_fmac_f32_e32 v18, v19, v9
	v_fma_f32 v19, -v11, v20, v16
	v_fmac_f32_e32 v14, v21, v12
	;; [unrolled: 2-line block ×3, first 2 shown]
	v_fma_f32 v6, -v6, v14, v17
	v_div_fmas_f32 v3, v3, v9, v18
	s_mov_b32 vcc_lo, s0
	v_fma_f32 v9, -v11, v20, v16
	v_div_fmas_f32 v6, v6, v12, v14
	s_mov_b32 vcc_lo, s1
	v_div_fixup_f32 v3, v3, v7, v10
	v_div_fixup_f32 v6, v6, v7, v8
	v_div_fmas_f32 v8, v9, v13, v20
	v_mul_f32_e32 v6, v6, v6
	v_div_fixup_f32 v5, v8, v7, v5
	v_fmac_f32_e32 v6, v3, v3
	v_mul_f32_e32 v3, 0.5, v7
	v_fmac_f32_e32 v6, v5, v5
	s_waitcnt vmcnt(1)
	v_fma_f32 v3, -v3, v6, v4
	v_cmp_gt_f32_e64 s0, 0xf800000, v6
	v_mul_f32_e32 v3, 0x3ecccccc, v3
	v_mul_f32_e32 v3, 0x3fb33333, v3
	v_div_scale_f32 v4, null, v7, v7, v3
	v_div_scale_f32 v9, vcc_lo, v3, v7, v3
	v_rcp_f32_e32 v5, v4
	v_fma_f32 v8, -v4, v5, 1.0
	v_fmac_f32_e32 v5, v8, v5
	v_mul_f32_e32 v8, v9, v5
	v_fma_f32 v10, -v4, v8, v9
	v_fmac_f32_e32 v8, v10, v5
	v_fma_f32 v4, -v4, v8, v9
	v_div_fmas_f32 v4, v4, v5, v8
	s_waitcnt vmcnt(0)
	v_mul_f32_e32 v5, 0x4f800000, v2
	v_cmp_gt_f32_e32 vcc_lo, 0xf800000, v2
	v_div_fixup_f32 v3, v4, v7, v3
	v_mul_f32_e32 v4, 0x4f800000, v6
	v_cndmask_b32_e32 v2, v2, v5, vcc_lo
	v_mul_f32_e32 v5, 0x4f800000, v3
	v_cndmask_b32_e64 v4, v6, v4, s0
	v_cmp_gt_f32_e64 s1, 0xf800000, v3
	v_sqrt_f32_e32 v6, v2
	v_cndmask_b32_e64 v3, v3, v5, s1
	v_sqrt_f32_e32 v5, v4
	v_sqrt_f32_e32 v7, v3
	v_add_nc_u32_e32 v8, -1, v6
	v_add_nc_u32_e32 v10, 1, v6
	v_add_nc_u32_e32 v9, -1, v5
	v_add_nc_u32_e32 v13, 1, v5
	v_fma_f32 v11, -v8, v6, v2
	v_fma_f32 v15, -v10, v6, v2
	v_add_nc_u32_e32 v12, -1, v7
	v_fma_f32 v14, -v9, v5, v4
	v_add_nc_u32_e32 v16, 1, v7
	v_fma_f32 v18, -v13, v5, v4
	v_fma_f32 v17, -v12, v7, v3
	v_cmp_ge_f32_e64 s2, 0, v14
	v_cndmask_b32_e64 v5, v5, v9, s2
	v_cmp_ge_f32_e64 s2, 0, v17
	v_fma_f32 v9, -v16, v7, v3
	v_cndmask_b32_e64 v7, v7, v12, s2
	v_cmp_ge_f32_e64 s2, 0, v11
	v_cndmask_b32_e64 v6, v6, v8, s2
	v_cmp_lt_f32_e64 s2, 0, v18
	v_cndmask_b32_e64 v5, v5, v13, s2
	v_cmp_lt_f32_e64 s2, 0, v9
	v_mul_f32_e32 v8, 0x37800000, v5
	v_cndmask_b32_e64 v7, v7, v16, s2
	v_cmp_lt_f32_e64 s2, 0, v15
	v_cndmask_b32_e64 v5, v5, v8, s0
	v_mul_f32_e32 v9, 0x37800000, v7
	v_cndmask_b32_e64 v6, v6, v10, s2
	v_cndmask_b32_e64 v7, v7, v9, s1
	v_mul_f32_e32 v10, 0x37800000, v6
	v_cndmask_b32_e32 v6, v6, v10, vcc_lo
	v_cmp_class_f32_e64 vcc_lo, v4, 0x260
	v_cndmask_b32_e32 v4, v5, v4, vcc_lo
	v_cmp_class_f32_e64 vcc_lo, v3, 0x260
	;; [unrolled: 2-line block ×3, first 2 shown]
	v_add_f32_e32 v3, v4, v3
	v_cndmask_b32_e32 v2, v6, v2, vcc_lo
	v_mul_f32_e32 v2, v2, v3
	v_div_scale_f32 v3, null, v2, v2, 0.5
	v_div_scale_f32 v6, vcc_lo, 0.5, v2, 0.5
	v_rcp_f32_e32 v4, v3
	v_fma_f32 v5, -v3, v4, 1.0
	v_fmac_f32_e32 v4, v5, v4
	v_mul_f32_e32 v5, v6, v4
	v_fma_f32 v7, -v3, v5, v6
	v_fmac_f32_e32 v5, v7, v4
	v_fma_f32 v3, -v3, v5, v6
	v_div_fmas_f32 v3, v3, v4, v5
	v_add_co_u32 v0, vcc_lo, s4, v0
	v_add_co_ci_u32_e64 v1, null, s5, v1, vcc_lo
	v_div_fixup_f32 v2, v3, v2, 0.5
	global_store_dword v[0:1], v2, off
.LBB2_2:
	s_endpgm
	.section	.rodata,"a",@progbits
	.p2align	6, 0x0
	.amdhsa_kernel _Z19compute_step_factoriPfS_S_
		.amdhsa_group_segment_fixed_size 0
		.amdhsa_private_segment_fixed_size 0
		.amdhsa_kernarg_size 288
		.amdhsa_user_sgpr_count 6
		.amdhsa_user_sgpr_private_segment_buffer 1
		.amdhsa_user_sgpr_dispatch_ptr 0
		.amdhsa_user_sgpr_queue_ptr 0
		.amdhsa_user_sgpr_kernarg_segment_ptr 1
		.amdhsa_user_sgpr_dispatch_id 0
		.amdhsa_user_sgpr_flat_scratch_init 0
		.amdhsa_user_sgpr_private_segment_size 0
		.amdhsa_wavefront_size32 1
		.amdhsa_uses_dynamic_stack 0
		.amdhsa_system_sgpr_private_segment_wavefront_offset 0
		.amdhsa_system_sgpr_workgroup_id_x 1
		.amdhsa_system_sgpr_workgroup_id_y 0
		.amdhsa_system_sgpr_workgroup_id_z 0
		.amdhsa_system_sgpr_workgroup_info 0
		.amdhsa_system_vgpr_workitem_id 0
		.amdhsa_next_free_vgpr 22
		.amdhsa_next_free_sgpr 10
		.amdhsa_reserve_vcc 1
		.amdhsa_reserve_flat_scratch 0
		.amdhsa_float_round_mode_32 0
		.amdhsa_float_round_mode_16_64 0
		.amdhsa_float_denorm_mode_32 3
		.amdhsa_float_denorm_mode_16_64 3
		.amdhsa_dx10_clamp 1
		.amdhsa_ieee_mode 1
		.amdhsa_fp16_overflow 0
		.amdhsa_workgroup_processor_mode 1
		.amdhsa_memory_ordered 1
		.amdhsa_forward_progress 1
		.amdhsa_shared_vgpr_count 0
		.amdhsa_exception_fp_ieee_invalid_op 0
		.amdhsa_exception_fp_denorm_src 0
		.amdhsa_exception_fp_ieee_div_zero 0
		.amdhsa_exception_fp_ieee_overflow 0
		.amdhsa_exception_fp_ieee_underflow 0
		.amdhsa_exception_fp_ieee_inexact 0
		.amdhsa_exception_int_div_zero 0
	.end_amdhsa_kernel
	.text
.Lfunc_end2:
	.size	_Z19compute_step_factoriPfS_S_, .Lfunc_end2-_Z19compute_step_factoriPfS_S_
                                        ; -- End function
	.set _Z19compute_step_factoriPfS_S_.num_vgpr, 22
	.set _Z19compute_step_factoriPfS_S_.num_agpr, 0
	.set _Z19compute_step_factoriPfS_S_.numbered_sgpr, 10
	.set _Z19compute_step_factoriPfS_S_.num_named_barrier, 0
	.set _Z19compute_step_factoriPfS_S_.private_seg_size, 0
	.set _Z19compute_step_factoriPfS_S_.uses_vcc, 1
	.set _Z19compute_step_factoriPfS_S_.uses_flat_scratch, 0
	.set _Z19compute_step_factoriPfS_S_.has_dyn_sized_stack, 0
	.set _Z19compute_step_factoriPfS_S_.has_recursion, 0
	.set _Z19compute_step_factoriPfS_S_.has_indirect_call, 0
	.section	.AMDGPU.csdata,"",@progbits
; Kernel info:
; codeLenInByte = 1112
; TotalNumSgprs: 12
; NumVgprs: 22
; ScratchSize: 0
; MemoryBound: 0
; FloatMode: 240
; IeeeMode: 1
; LDSByteSize: 0 bytes/workgroup (compile time only)
; SGPRBlocks: 0
; VGPRBlocks: 2
; NumSGPRsForWavesPerEU: 12
; NumVGPRsForWavesPerEU: 22
; Occupancy: 16
; WaveLimiterHint : 0
; COMPUTE_PGM_RSRC2:SCRATCH_EN: 0
; COMPUTE_PGM_RSRC2:USER_SGPR: 6
; COMPUTE_PGM_RSRC2:TRAP_HANDLER: 0
; COMPUTE_PGM_RSRC2:TGID_X_EN: 1
; COMPUTE_PGM_RSRC2:TGID_Y_EN: 0
; COMPUTE_PGM_RSRC2:TGID_Z_EN: 0
; COMPUTE_PGM_RSRC2:TIDIG_COMP_CNT: 0
	.text
	.protected	_Z12compute_fluxiPiPfS0_S0_S0_P6Float3S2_S2_S2_ ; -- Begin function _Z12compute_fluxiPiPfS0_S0_S0_P6Float3S2_S2_S2_
	.globl	_Z12compute_fluxiPiPfS0_S0_S0_P6Float3S2_S2_S2_
	.p2align	8
	.type	_Z12compute_fluxiPiPfS0_S0_S0_P6Float3S2_S2_S2_,@function
_Z12compute_fluxiPiPfS0_S0_S0_P6Float3S2_S2_S2_: ; @_Z12compute_fluxiPiPfS0_S0_S0_P6Float3S2_S2_S2_
; %bb.0:
	s_clause 0x1
	s_load_dword s0, s[4:5], 0x5c
	s_load_dword s24, s[4:5], 0x0
	s_waitcnt lgkmcnt(0)
	s_and_b32 s0, s0, 0xffff
	v_mad_u64_u32 v[0:1], null, s6, s0, v[0:1]
	s_mov_b32 s0, exec_lo
	v_cmpx_gt_i32_e64 s24, v0
	s_cbranch_execz .LBB3_42
; %bb.1:
	s_load_dwordx16 s[8:23], s[4:5], 0x8
	v_add3_u32 v2, s24, s24, v0
	v_ashrrev_i32_e32 v1, 31, v0
	s_ashr_i32 s25, s24, 31
	s_lshl_b32 s3, s24, 2
	s_lshl_b64 s[6:7], s[24:25], 2
	v_add_nc_u32_e32 v6, s24, v2
	v_lshlrev_b64 v[4:5], 2, v[0:1]
	v_ashrrev_i32_e32 v3, 31, v2
	s_load_dwordx2 s[4:5], s[4:5], 0x48
	v_ashrrev_i32_e32 v7, 31, v6
	v_lshlrev_b64 v[0:1], 2, v[2:3]
	v_lshlrev_b64 v[2:3], 2, v[6:7]
	s_waitcnt lgkmcnt(0)
	v_add_co_u32 v8, vcc_lo, s12, v4
	v_add_co_ci_u32_e64 v9, null, s13, v5, vcc_lo
	v_add_co_u32 v10, vcc_lo, v8, s6
	v_add_co_ci_u32_e64 v11, null, s7, v9, vcc_lo
	;; [unrolled: 2-line block ×3, first 2 shown]
	v_add_co_u32 v7, vcc_lo, s12, v2
	s_clause 0x1
	global_load_dword v19, v[8:9], off
	global_load_dword v18, v[10:11], off
	v_add_co_ci_u32_e64 v8, null, s13, v3, vcc_lo
	s_clause 0x1
	global_load_dword v17, v[12:13], off
	global_load_dword v16, v[7:8], off
	v_add_nc_u32_e32 v8, s24, v6
	v_ashrrev_i32_e32 v9, 31, v8
	v_add_nc_u32_e32 v12, s3, v8
	v_lshlrev_b64 v[6:7], 2, v[8:9]
	v_ashrrev_i32_e32 v13, 31, v12
	v_add_co_u32 v9, vcc_lo, s12, v6
	v_add_co_ci_u32_e64 v10, null, s13, v7, vcc_lo
	v_lshlrev_b64 v[21:22], 2, v[12:13]
	global_load_dword v20, v[9:10], off
	v_add_co_u32 v10, vcc_lo, s8, v4
	v_add_co_ci_u32_e64 v11, null, s9, v5, vcc_lo
	v_add_co_u32 v8, vcc_lo, s10, v4
	v_add_co_ci_u32_e64 v9, null, s11, v5, vcc_lo
	;; [unrolled: 2-line block ×4, first 2 shown]
	global_load_dword v14, v[10:11], off
	s_clause 0x2
	global_load_dword v38, v[8:9], off
	global_load_dword v37, v[23:24], off
	;; [unrolled: 1-line block ×3, first 2 shown]
	s_waitcnt vmcnt(7)
	v_div_scale_f32 v15, null, v19, v19, v18
	v_div_scale_f32 v27, vcc_lo, v18, v19, v18
	s_waitcnt vmcnt(6)
	v_div_scale_f32 v21, null, v19, v19, v17
	v_rcp_f32_e32 v22, v15
	s_waitcnt vmcnt(5)
	v_div_scale_f32 v23, null, v19, v19, v16
	v_rcp_f32_e32 v24, v21
	v_div_scale_f32 v29, s0, v17, v19, v17
	v_rcp_f32_e32 v25, v23
	v_fma_f32 v26, -v15, v22, 1.0
	v_fma_f32 v28, -v21, v24, 1.0
	v_fmac_f32_e32 v22, v26, v22
	v_fma_f32 v26, -v23, v25, 1.0
	v_fmac_f32_e32 v24, v28, v24
	v_div_scale_f32 v28, s1, v16, v19, v16
	v_mul_f32_e32 v30, v27, v22
	v_fmac_f32_e32 v25, v26, v25
	v_mul_f32_e32 v26, v29, v24
	v_fma_f32 v31, -v15, v30, v27
	v_mul_f32_e32 v32, v28, v25
	v_fma_f32 v33, -v21, v26, v29
	v_fmac_f32_e32 v30, v31, v22
	v_fma_f32 v31, -v23, v32, v28
	v_fmac_f32_e32 v26, v33, v24
	;; [unrolled: 2-line block ×3, first 2 shown]
	v_fma_f32 v21, -v21, v26, v29
	v_div_fmas_f32 v15, v15, v22, v30
	s_mov_b32 vcc_lo, s0
	v_fma_f32 v22, -v23, v32, v28
	v_div_fmas_f32 v21, v21, v24, v26
	s_mov_b32 vcc_lo, s1
	v_div_fixup_f32 v15, v15, v19, v18
	v_div_fixup_f32 v27, v21, v19, v17
	v_div_fmas_f32 v21, v22, v25, v32
	v_mul_f32_e32 v22, v27, v27
	v_div_fixup_f32 v25, v21, v19, v16
	v_mul_f32_e32 v21, -0.5, v19
	v_fmac_f32_e32 v22, v15, v15
	v_fmac_f32_e32 v22, v25, v25
	s_waitcnt vmcnt(4)
	v_fma_f32 v24, v21, v22, v20
	v_cmp_gt_f32_e64 s0, 0xf800000, v22
	v_mul_f32_e32 v36, 0x3ecccccc, v24
	v_mul_f32_e32 v21, 0x3fb33333, v36
	v_div_scale_f32 v23, null, v19, v19, v21
	v_div_scale_f32 v29, vcc_lo, v21, v19, v21
	v_rcp_f32_e32 v26, v23
	v_fma_f32 v28, -v23, v26, 1.0
	v_fmac_f32_e32 v26, v28, v26
	v_mul_f32_e32 v28, v29, v26
	v_fma_f32 v30, -v23, v28, v29
	v_fmac_f32_e32 v28, v30, v26
	v_fmamk_f32 v30, v24, 0x3ecccccc, v20
	v_fma_f32 v23, -v23, v28, v29
	v_div_fmas_f32 v23, v23, v26, v28
	v_div_fixup_f32 v21, v23, v19, v21
	v_mul_f32_e32 v23, 0x4f800000, v22
	v_mul_f32_e32 v26, 0x4f800000, v21
	v_cndmask_b32_e64 v34, v22, v23, s0
	v_cmp_gt_f32_e64 s1, 0xf800000, v21
	v_mul_f32_e32 v23, v17, v15
	v_mul_f32_e32 v22, v16, v27
	v_cmp_class_f32_e64 vcc_lo, v34, 0x260
	v_cndmask_b32_e64 v39, v21, v26, s1
	v_sqrt_f32_e32 v26, v34
	v_mul_f32_e32 v21, v15, v16
	v_sqrt_f32_e32 v28, v39
	v_add_nc_u32_e32 v29, -1, v26
	v_add_nc_u32_e32 v31, 1, v26
	v_add_nc_u32_e32 v24, -1, v28
	v_fma_f32 v32, -v29, v26, v34
	v_add_nc_u32_e32 v33, 1, v28
	v_fma_f32 v40, -v31, v26, v34
	v_fma_f32 v35, -v24, v28, v39
	v_cmp_ge_f32_e64 s2, 0, v32
	v_cndmask_b32_e64 v26, v26, v29, s2
	v_cmp_ge_f32_e64 s2, 0, v35
	v_fma_f32 v29, -v33, v28, v39
	v_cndmask_b32_e64 v24, v28, v24, s2
	v_cmp_lt_f32_e64 s2, 0, v40
	v_fma_f32 v28, v18, v15, v36
	v_cndmask_b32_e64 v31, v26, v31, s2
	v_cmp_lt_f32_e64 s2, 0, v29
	v_mul_f32_e32 v29, v15, v30
	v_fma_f32 v26, v17, v27, v36
	v_mul_f32_e32 v27, v27, v30
	v_cndmask_b32_e64 v32, v24, v33, s2
	v_mul_f32_e32 v33, 0x37800000, v31
	v_fma_f32 v24, v16, v25, v36
	v_mul_f32_e32 v25, v25, v30
	s_mov_b32 s2, exec_lo
	v_mul_f32_e32 v15, 0x37800000, v32
	v_cndmask_b32_e64 v35, v31, v33, s0
	v_cmp_class_f32_e64 s0, v39, 0x260
                                        ; implicit-def: $vgpr30
                                        ; implicit-def: $vgpr31
                                        ; implicit-def: $vgpr33
	v_cndmask_b32_e64 v40, v32, v15, s1
                                        ; implicit-def: $vgpr32
                                        ; implicit-def: $vgpr15
	s_waitcnt vmcnt(3)
	v_cmpx_gt_i32_e32 0, v14
	s_xor_b32 s2, exec_lo, s2
	s_cbranch_execz .LBB3_9
; %bb.2:
	v_cmp_lt_i32_e64 s1, -2, v14
                                        ; implicit-def: $vgpr15
                                        ; implicit-def: $vgpr30
                                        ; implicit-def: $vgpr31
	s_and_saveexec_b32 s25, s1
	s_xor_b32 s1, exec_lo, s25
	s_cbranch_execz .LBB3_4
; %bb.3:
	s_waitcnt vmcnt(2)
	v_fma_f32 v31, v36, v38, 0
	s_waitcnt vmcnt(1)
	v_fma_f32 v30, v36, v37, 0
	;; [unrolled: 2-line block ×3, first 2 shown]
                                        ; implicit-def: $vgpr14
                                        ; implicit-def: $vgpr38
                                        ; implicit-def: $vgpr37
                                        ; implicit-def: $vgpr13
.LBB3_4:
	s_or_saveexec_b32 s25, s1
	v_mov_b32_e32 v32, 0
	v_mov_b32_e32 v33, 0
	s_xor_b32 exec_lo, exec_lo, s25
	s_cbranch_execz .LBB3_8
; %bb.5:
	v_mov_b32_e32 v32, 0
	v_mov_b32_e32 v15, 0
	;; [unrolled: 1-line block ×5, first 2 shown]
	s_mov_b32 s26, exec_lo
	v_cmpx_eq_u32_e32 -2, v14
	s_cbranch_execz .LBB3_7
; %bb.6:
	s_load_dwordx2 s[28:29], s[14:15], 0x4
	s_load_dwordx2 s[30:31], s[18:19], 0x0
	;; [unrolled: 1-line block ×5, first 2 shown]
	s_load_dword s1, s[14:15], 0xc
	s_load_dword s27, s[18:19], 0x8
	;; [unrolled: 1-line block ×5, first 2 shown]
	s_waitcnt vmcnt(2)
	v_mul_f32_e32 v14, 0.5, v38
	s_waitcnt vmcnt(1)
	v_mul_f32_e32 v37, 0.5, v37
	;; [unrolled: 2-line block ×3, first 2 shown]
	s_waitcnt lgkmcnt(0)
	v_add_f32_e32 v15, s28, v18
	v_add_f32_e32 v30, s30, v29
	;; [unrolled: 1-line block ×10, first 2 shown]
	v_fma_f32 v32, v14, v15, 0
	v_fma_f32 v33, v14, v30, 0
	;; [unrolled: 1-line block ×5, first 2 shown]
	v_fmac_f32_e32 v32, v37, v42
	v_fmac_f32_e32 v33, v37, v43
	;; [unrolled: 1-line block ×5, first 2 shown]
	v_add_f32_e32 v14, s1, v16
	v_add_f32_e32 v37, s27, v25
	;; [unrolled: 1-line block ×5, first 2 shown]
	v_fmac_f32_e32 v32, v13, v14
	v_fmac_f32_e32 v33, v13, v37
	;; [unrolled: 1-line block ×5, first 2 shown]
.LBB3_7:
	s_or_b32 exec_lo, exec_lo, s26
.LBB3_8:
	s_or_b32 exec_lo, exec_lo, s25
                                        ; implicit-def: $vgpr37
                                        ; implicit-def: $vgpr38
                                        ; implicit-def: $vgpr13
                                        ; implicit-def: $vgpr14
.LBB3_9:
	s_or_saveexec_b32 s2, s2
	v_cndmask_b32_e32 v35, v35, v34, vcc_lo
	v_cndmask_b32_e64 v34, v40, v39, s0
	s_xor_b32 exec_lo, exec_lo, s2
	s_cbranch_execz .LBB3_11
; %bb.10:
	v_add_nc_u32_e32 v30, s24, v14
	v_mov_b32_e32 v15, 0
	v_add_nc_u32_e32 v32, s24, v30
	v_ashrrev_i32_e32 v31, 31, v30
	v_lshlrev_b64 v[14:15], 2, v[14:15]
	v_ashrrev_i32_e32 v33, 31, v32
	v_lshlrev_b64 v[30:31], 2, v[30:31]
	v_add_nc_u32_e32 v39, s24, v32
	v_add_co_u32 v14, vcc_lo, s12, v14
	v_lshlrev_b64 v[32:33], 2, v[32:33]
	v_add_co_ci_u32_e64 v15, null, s13, v15, vcc_lo
	v_ashrrev_i32_e32 v40, 31, v39
	v_add_co_u32 v30, vcc_lo, s12, v30
	v_add_co_ci_u32_e64 v31, null, s13, v31, vcc_lo
	v_add_co_u32 v32, vcc_lo, s12, v32
	v_add_co_ci_u32_e64 v33, null, s13, v33, vcc_lo
	v_lshlrev_b64 v[40:41], 2, v[39:40]
	s_clause 0x2
	global_load_dword v42, v[14:15], off
	global_load_dword v15, v[30:31], off
	;; [unrolled: 1-line block ×3, first 2 shown]
	v_add_co_u32 v30, vcc_lo, s12, v40
	v_add_co_ci_u32_e64 v31, null, s13, v41, vcc_lo
	global_load_dword v32, v[30:31], off
	v_add_nc_u32_e32 v30, s24, v39
	v_ashrrev_i32_e32 v31, 31, v30
	v_lshlrev_b64 v[30:31], 2, v[30:31]
	v_add_co_u32 v30, vcc_lo, s12, v30
	v_add_co_ci_u32_e64 v31, null, s13, v31, vcc_lo
	global_load_dword v30, v[30:31], off
	s_waitcnt vmcnt(3)
	v_div_scale_f32 v31, null, v42, v42, v15
	s_waitcnt vmcnt(2)
	v_div_scale_f32 v33, null, v42, v42, v14
	v_div_scale_f32 v46, vcc_lo, v15, v42, v15
	v_rcp_f32_e32 v39, v31
	v_rcp_f32_e32 v40, v33
	s_waitcnt vmcnt(1)
	v_div_scale_f32 v41, null, v42, v42, v32
	v_div_scale_f32 v49, s1, v32, v42, v32
	v_fma_f32 v43, -v31, v39, 1.0
	v_rcp_f32_e32 v44, v41
	v_fma_f32 v45, -v33, v40, 1.0
	v_fmac_f32_e32 v39, v43, v39
	v_div_scale_f32 v43, s0, v14, v42, v14
	v_fmac_f32_e32 v40, v45, v40
	v_mul_f32_e32 v45, v46, v39
	v_fma_f32 v47, -v41, v44, 1.0
	v_mul_f32_e32 v48, v43, v40
	v_fma_f32 v50, -v31, v45, v46
	v_fmac_f32_e32 v44, v47, v44
	v_fma_f32 v47, -v33, v48, v43
	v_fmac_f32_e32 v45, v50, v39
	v_mul_f32_e32 v50, v49, v44
	v_fmac_f32_e32 v48, v47, v40
	v_fma_f32 v31, -v31, v45, v46
	v_fma_f32 v46, -v41, v50, v49
	;; [unrolled: 1-line block ×3, first 2 shown]
	v_div_fmas_f32 v31, v31, v39, v45
	s_mov_b32 vcc_lo, s0
	v_fmac_f32_e32 v50, v46, v44
	v_div_fmas_f32 v33, v33, v40, v48
	s_mov_b32 vcc_lo, s1
	v_div_fixup_f32 v31, v31, v42, v15
	v_mul_f32_e32 v45, v37, v37
	v_fma_f32 v39, -v41, v50, v49
	v_div_fixup_f32 v33, v33, v42, v14
	v_mul_f32_e32 v41, 0.5, v42
	v_mul_f32_e32 v37, 0.5, v37
	v_fmac_f32_e32 v45, v38, v38
	v_div_fmas_f32 v39, v39, v44, v50
	v_mul_f32_e32 v40, v33, v33
	v_mul_f32_e32 v38, 0.5, v38
	v_fma_f32 v55, v32, v33, v22
	v_fmac_f32_e32 v45, v13, v13
	v_div_fixup_f32 v39, v39, v42, v32
	v_fmac_f32_e32 v40, v31, v31
	v_mul_f32_e32 v13, 0.5, v13
	v_mul_f32_e32 v48, 0x4f800000, v45
	v_cmp_gt_f32_e64 s0, 0xf800000, v45
	v_fmac_f32_e32 v40, v39, v39
	v_cndmask_b32_e64 v45, v45, v48, s0
	s_waitcnt vmcnt(0)
	v_fma_f32 v41, -v41, v40, v30
	v_mul_f32_e32 v54, 0x4f800000, v40
	v_mul_f32_e32 v43, 0x3ecccccc, v41
	;; [unrolled: 1-line block ×3, first 2 shown]
	v_div_scale_f32 v46, null, v42, v42, v44
	v_div_scale_f32 v48, vcc_lo, v44, v42, v44
	v_rcp_f32_e32 v47, v46
	v_fma_f32 v49, -v46, v47, 1.0
	v_fmac_f32_e32 v47, v49, v47
	v_sqrt_f32_e32 v49, v45
	v_mul_f32_e32 v50, v48, v47
	v_fma_f32 v51, -v46, v50, v48
	v_add_nc_u32_e32 v52, -1, v49
	v_fmac_f32_e32 v50, v51, v47
	v_add_nc_u32_e32 v51, 1, v49
	v_fma_f32 v53, -v52, v49, v45
	v_fma_f32 v46, -v46, v50, v48
	;; [unrolled: 1-line block ×3, first 2 shown]
	v_cmp_ge_f32_e64 s1, 0, v53
	v_add_f32_e32 v53, v16, v32
	v_div_fmas_f32 v46, v46, v47, v50
	v_cmp_gt_f32_e32 vcc_lo, 0xf800000, v40
	v_cndmask_b32_e64 v47, v49, v52, s1
	v_cmp_lt_f32_e64 s1, 0, v48
	v_div_fixup_f32 v44, v46, v42, v44
	v_cndmask_b32_e32 v40, v40, v54, vcc_lo
	v_sub_f32_e32 v42, v19, v42
	v_cndmask_b32_e64 v47, v47, v51, s1
	v_fma_f32 v54, v14, v31, v23
	v_mul_f32_e32 v48, 0x4f800000, v44
	v_sqrt_f32_e32 v46, v40
	v_cmp_gt_f32_e64 s1, 0xf800000, v44
	v_mul_f32_e32 v49, 0x37800000, v47
	v_cndmask_b32_e64 v44, v44, v48, s1
	v_cndmask_b32_e64 v47, v47, v49, s0
	v_cmp_class_f32_e64 s0, v45, 0x260
	v_add_nc_u32_e32 v48, -1, v46
	v_sqrt_f32_e32 v49, v44
	v_add_nc_u32_e32 v50, 1, v46
	v_cndmask_b32_e64 v45, v47, v45, s0
	v_fma_f32 v51, -v48, v46, v40
	v_fma_f32 v47, -v50, v46, v40
	v_mul_f32_e32 v45, 0xbe4ccccd, v45
	v_cmp_ge_f32_e64 s0, 0, v51
	v_mul_f32_e32 v45, 0.5, v45
	v_cndmask_b32_e64 v46, v46, v48, s0
	v_add_nc_u32_e32 v48, -1, v49
	v_cmp_lt_f32_e64 s0, 0, v47
	v_add_nc_u32_e32 v47, 1, v49
	v_cndmask_b32_e64 v46, v46, v50, s0
	v_fma_f32 v50, -v48, v49, v44
	v_fma_f32 v52, -v47, v49, v44
	v_mul_f32_e32 v51, 0x37800000, v46
	v_cmp_ge_f32_e64 s0, 0, v50
	v_cndmask_b32_e32 v46, v46, v51, vcc_lo
	v_cndmask_b32_e64 v48, v49, v48, s0
	v_cmp_lt_f32_e32 vcc_lo, 0, v52
	v_sub_f32_e32 v49, v18, v15
	v_sub_f32_e32 v52, v16, v32
	v_add_f32_e32 v51, v17, v14
	v_cndmask_b32_e32 v47, v48, v47, vcc_lo
	v_cmp_class_f32_e64 vcc_lo, v40, 0x260
	v_add_f32_e32 v48, v18, v15
	v_fma_f32 v15, v15, v31, v43
	v_mul_f32_e32 v50, 0x37800000, v47
	v_cndmask_b32_e32 v40, v46, v40, vcc_lo
	v_cmp_class_f32_e64 vcc_lo, v44, 0x260
	v_sub_f32_e32 v46, v17, v14
	v_fma_f32 v14, v14, v33, v43
	v_cndmask_b32_e64 v47, v47, v50, s1
	v_add_f32_e32 v40, v35, v40
	v_sub_f32_e32 v50, v20, v30
	v_fmamk_f32 v30, v41, 0x3ecccccc, v30
	v_fmac_f32_e32 v43, v32, v39
	v_cndmask_b32_e32 v44, v47, v44, vcc_lo
	v_add_f32_e32 v40, v34, v40
	v_fma_f32 v47, v31, v32, v21
	v_fma_f32 v41, v31, v30, v29
	;; [unrolled: 1-line block ×3, first 2 shown]
	v_add_f32_e32 v14, v26, v14
	v_add_f32_e32 v40, v40, v44
	v_fma_f32 v44, v33, v30, v27
	v_add_f32_e32 v43, v24, v43
	v_mul_f32_e32 v40, v45, v40
	v_add_f32_e32 v45, v28, v15
	v_fma_f32 v32, v42, v40, 0
	v_fma_f32 v33, v50, v40, 0
	;; [unrolled: 1-line block ×5, first 2 shown]
	v_fmac_f32_e32 v32, v38, v48
	v_fmac_f32_e32 v33, v38, v41
	;; [unrolled: 1-line block ×15, first 2 shown]
.LBB3_11:
	s_or_b32 exec_lo, exec_lo, s2
	s_mul_i32 s2, s24, -3
	v_add_co_u32 v10, vcc_lo, v10, s6
	s_waitcnt vmcnt(0)
	v_add_nc_u32_e32 v13, s2, v12
	v_add_co_ci_u32_e64 v11, null, s7, v11, vcc_lo
	v_add_co_u32 v39, vcc_lo, v8, s6
	v_ashrrev_i32_e32 v14, 31, v13
	v_add_nc_u32_e32 v12, s3, v13
	v_add_co_ci_u32_e64 v40, null, s7, v9, vcc_lo
	global_load_dword v8, v[10:11], off
	v_lshlrev_b64 v[37:38], 2, v[13:14]
	v_ashrrev_i32_e32 v13, 31, v12
	s_mov_b32 s0, exec_lo
	v_lshlrev_b64 v[9:10], 2, v[12:13]
	v_add_co_u32 v37, vcc_lo, s10, v37
	v_add_co_ci_u32_e64 v38, null, s11, v38, vcc_lo
	v_add_co_u32 v9, vcc_lo, s10, v9
	v_add_co_ci_u32_e64 v10, null, s11, v10, vcc_lo
	s_clause 0x2
	global_load_dword v13, v[39:40], off
	global_load_dword v11, v[37:38], off
	;; [unrolled: 1-line block ×3, first 2 shown]
	s_waitcnt vmcnt(3)
	v_cmpx_gt_i32_e32 0, v8
	s_xor_b32 s0, exec_lo, s0
	s_cbranch_execz .LBB3_19
; %bb.12:
	s_mov_b32 s1, exec_lo
	v_cmpx_lt_i32_e32 -2, v8
	s_xor_b32 s1, exec_lo, s1
	s_cbranch_execz .LBB3_14
; %bb.13:
	s_waitcnt vmcnt(2)
	v_fmac_f32_e32 v31, v36, v13
	s_waitcnt vmcnt(1)
	v_fmac_f32_e32 v30, v36, v11
	s_waitcnt vmcnt(0)
	v_fmac_f32_e32 v15, v36, v10
                                        ; implicit-def: $vgpr8
                                        ; implicit-def: $vgpr13
                                        ; implicit-def: $vgpr11
                                        ; implicit-def: $vgpr10
.LBB3_14:
	s_andn2_saveexec_b32 s1, s1
	s_cbranch_execz .LBB3_18
; %bb.15:
	s_mov_b32 s25, exec_lo
	v_cmpx_eq_u32_e32 -2, v8
	s_cbranch_execz .LBB3_17
; %bb.16:
	s_load_dwordx2 s[26:27], s[14:15], 0x4
	s_load_dwordx2 s[28:29], s[18:19], 0x0
	;; [unrolled: 1-line block ×5, first 2 shown]
	s_load_dword s33, s[14:15], 0xc
	s_load_dword s38, s[18:19], 0x8
	;; [unrolled: 1-line block ×5, first 2 shown]
	s_waitcnt vmcnt(2)
	v_mul_f32_e32 v8, 0.5, v13
	s_waitcnt vmcnt(1)
	v_mul_f32_e32 v9, 0.5, v11
	s_waitcnt lgkmcnt(0)
	v_add_f32_e32 v11, s26, v18
	v_add_f32_e32 v13, s28, v29
	;; [unrolled: 1-line block ×10, first 2 shown]
	v_fmac_f32_e32 v32, v8, v11
	v_fmac_f32_e32 v33, v8, v13
	;; [unrolled: 1-line block ×10, first 2 shown]
	s_waitcnt vmcnt(0)
	v_mul_f32_e32 v8, 0.5, v10
	v_add_f32_e32 v9, s33, v16
	v_add_f32_e32 v10, s38, v25
	;; [unrolled: 1-line block ×5, first 2 shown]
	v_fmac_f32_e32 v32, v8, v9
	v_fmac_f32_e32 v33, v8, v10
	v_fmac_f32_e32 v31, v8, v11
	v_fmac_f32_e32 v30, v8, v13
	v_fmac_f32_e32 v15, v8, v14
.LBB3_17:
	s_or_b32 exec_lo, exec_lo, s25
.LBB3_18:
	s_or_b32 exec_lo, exec_lo, s1
                                        ; implicit-def: $vgpr8
                                        ; implicit-def: $vgpr13
                                        ; implicit-def: $vgpr11
                                        ; implicit-def: $vgpr10
.LBB3_19:
	s_andn2_saveexec_b32 s25, s0
	s_cbranch_execz .LBB3_21
; %bb.20:
	v_add_nc_u32_e32 v37, s24, v8
	v_mov_b32_e32 v9, 0
	v_add_nc_u32_e32 v39, s24, v37
	v_ashrrev_i32_e32 v38, 31, v37
	v_lshlrev_b64 v[8:9], 2, v[8:9]
	v_ashrrev_i32_e32 v40, 31, v39
	v_lshlrev_b64 v[37:38], 2, v[37:38]
	v_add_nc_u32_e32 v41, s24, v39
	v_add_co_u32 v8, vcc_lo, s12, v8
	v_lshlrev_b64 v[39:40], 2, v[39:40]
	v_add_co_ci_u32_e64 v9, null, s13, v9, vcc_lo
	v_ashrrev_i32_e32 v42, 31, v41
	v_add_co_u32 v37, vcc_lo, s12, v37
	v_add_co_ci_u32_e64 v38, null, s13, v38, vcc_lo
	v_add_co_u32 v39, vcc_lo, s12, v39
	v_add_co_ci_u32_e64 v40, null, s13, v40, vcc_lo
	v_lshlrev_b64 v[42:43], 2, v[41:42]
	s_clause 0x2
	global_load_dword v44, v[8:9], off
	global_load_dword v9, v[37:38], off
	;; [unrolled: 1-line block ×3, first 2 shown]
	v_add_co_u32 v37, vcc_lo, s12, v42
	v_add_co_ci_u32_e64 v38, null, s13, v43, vcc_lo
	global_load_dword v14, v[37:38], off
	v_add_nc_u32_e32 v37, s24, v41
	v_ashrrev_i32_e32 v38, 31, v37
	v_lshlrev_b64 v[37:38], 2, v[37:38]
	v_add_co_u32 v37, vcc_lo, s12, v37
	v_add_co_ci_u32_e64 v38, null, s13, v38, vcc_lo
	global_load_dword v37, v[37:38], off
	s_waitcnt vmcnt(3)
	v_div_scale_f32 v38, null, v44, v44, v9
	s_waitcnt vmcnt(2)
	v_div_scale_f32 v39, null, v44, v44, v8
	v_div_scale_f32 v47, vcc_lo, v9, v44, v9
	v_rcp_f32_e32 v40, v38
	v_rcp_f32_e32 v41, v39
	s_waitcnt vmcnt(1)
	v_div_scale_f32 v42, null, v44, v44, v14
	v_div_scale_f32 v50, s1, v14, v44, v14
	v_fma_f32 v43, -v38, v40, 1.0
	v_rcp_f32_e32 v45, v42
	v_fma_f32 v46, -v39, v41, 1.0
	v_fmac_f32_e32 v40, v43, v40
	v_div_scale_f32 v43, s0, v8, v44, v8
	v_fmac_f32_e32 v41, v46, v41
	v_mul_f32_e32 v46, v47, v40
	v_fma_f32 v48, -v42, v45, 1.0
	v_mul_f32_e32 v49, v43, v41
	v_fma_f32 v51, -v38, v46, v47
	v_fmac_f32_e32 v45, v48, v45
	v_fma_f32 v48, -v39, v49, v43
	v_fmac_f32_e32 v46, v51, v40
	v_mul_f32_e32 v51, v50, v45
	v_fmac_f32_e32 v49, v48, v41
	v_fma_f32 v38, -v38, v46, v47
	v_fma_f32 v47, -v42, v51, v50
	;; [unrolled: 1-line block ×3, first 2 shown]
	v_div_fmas_f32 v38, v38, v40, v46
	s_mov_b32 vcc_lo, s0
	v_fmac_f32_e32 v51, v47, v45
	v_div_fmas_f32 v39, v39, v41, v49
	s_mov_b32 vcc_lo, s1
	v_div_fixup_f32 v38, v38, v44, v9
	v_mul_f32_e32 v46, v11, v11
	v_fma_f32 v40, -v42, v51, v50
	v_div_fixup_f32 v39, v39, v44, v8
	v_mul_f32_e32 v42, 0.5, v44
	v_mul_f32_e32 v11, 0.5, v11
	v_fmac_f32_e32 v46, v13, v13
	v_div_fmas_f32 v40, v40, v45, v51
	v_mul_f32_e32 v41, v39, v39
	v_fma_f32 v56, v14, v39, v22
	v_mul_f32_e32 v13, 0.5, v13
	v_fmac_f32_e32 v46, v10, v10
	v_div_fixup_f32 v40, v40, v44, v14
	v_fmac_f32_e32 v41, v38, v38
	v_mul_f32_e32 v10, 0.5, v10
	v_mul_f32_e32 v49, 0x4f800000, v46
	v_cmp_gt_f32_e64 s0, 0xf800000, v46
	v_fmac_f32_e32 v41, v40, v40
	v_cndmask_b32_e64 v46, v46, v49, s0
	s_waitcnt vmcnt(0)
	v_fma_f32 v42, -v42, v41, v37
	v_mul_f32_e32 v55, 0x4f800000, v41
	v_mul_f32_e32 v43, 0x3ecccccc, v42
	;; [unrolled: 1-line block ×3, first 2 shown]
	v_div_scale_f32 v47, null, v44, v44, v45
	v_div_scale_f32 v49, vcc_lo, v45, v44, v45
	v_rcp_f32_e32 v48, v47
	v_fma_f32 v50, -v47, v48, 1.0
	v_fmac_f32_e32 v48, v50, v48
	v_sqrt_f32_e32 v50, v46
	v_mul_f32_e32 v51, v49, v48
	v_fma_f32 v52, -v47, v51, v49
	v_add_nc_u32_e32 v53, -1, v50
	v_fmac_f32_e32 v51, v52, v48
	v_add_nc_u32_e32 v52, 1, v50
	v_fma_f32 v54, -v53, v50, v46
	v_fma_f32 v47, -v47, v51, v49
	;; [unrolled: 1-line block ×3, first 2 shown]
	v_cmp_ge_f32_e64 s1, 0, v54
	v_add_f32_e32 v54, v16, v14
	v_div_fmas_f32 v47, v47, v48, v51
	v_cmp_gt_f32_e32 vcc_lo, 0xf800000, v41
	v_cndmask_b32_e64 v48, v50, v53, s1
	v_cmp_lt_f32_e64 s1, 0, v49
	v_div_fixup_f32 v45, v47, v44, v45
	v_cndmask_b32_e32 v41, v41, v55, vcc_lo
	v_sub_f32_e32 v44, v19, v44
	v_cndmask_b32_e64 v48, v48, v52, s1
	v_fma_f32 v55, v8, v38, v23
	v_mul_f32_e32 v49, 0x4f800000, v45
	v_sqrt_f32_e32 v47, v41
	v_cmp_gt_f32_e64 s1, 0xf800000, v45
	v_mul_f32_e32 v50, 0x37800000, v48
	v_cndmask_b32_e64 v45, v45, v49, s1
	v_cndmask_b32_e64 v48, v48, v50, s0
	v_cmp_class_f32_e64 s0, v46, 0x260
	v_add_nc_u32_e32 v49, -1, v47
	v_sqrt_f32_e32 v50, v45
	v_add_nc_u32_e32 v51, 1, v47
	v_cndmask_b32_e64 v46, v48, v46, s0
	v_fma_f32 v52, -v49, v47, v41
	v_fma_f32 v48, -v51, v47, v41
	v_mul_f32_e32 v46, 0xbe4ccccd, v46
	v_cmp_ge_f32_e64 s0, 0, v52
	v_mul_f32_e32 v46, 0.5, v46
	v_cndmask_b32_e64 v47, v47, v49, s0
	v_add_nc_u32_e32 v49, -1, v50
	v_cmp_lt_f32_e64 s0, 0, v48
	v_add_nc_u32_e32 v48, 1, v50
	v_cndmask_b32_e64 v47, v47, v51, s0
	v_fma_f32 v51, -v49, v50, v45
	v_fma_f32 v53, -v48, v50, v45
	v_mul_f32_e32 v52, 0x37800000, v47
	v_cmp_ge_f32_e64 s0, 0, v51
	v_cndmask_b32_e32 v47, v47, v52, vcc_lo
	v_cndmask_b32_e64 v49, v50, v49, s0
	v_cmp_lt_f32_e32 vcc_lo, 0, v53
	v_sub_f32_e32 v50, v18, v9
	v_add_f32_e32 v52, v17, v8
	v_sub_f32_e32 v53, v16, v14
	v_cndmask_b32_e32 v48, v49, v48, vcc_lo
	v_cmp_class_f32_e64 vcc_lo, v41, 0x260
	v_add_f32_e32 v49, v18, v9
	v_fma_f32 v9, v9, v38, v43
	v_mul_f32_e32 v51, 0x37800000, v48
	v_cndmask_b32_e32 v41, v47, v41, vcc_lo
	v_cmp_class_f32_e64 vcc_lo, v45, 0x260
	v_sub_f32_e32 v47, v17, v8
	v_fma_f32 v8, v8, v39, v43
	v_cndmask_b32_e64 v48, v48, v51, s1
	v_add_f32_e32 v41, v35, v41
	v_sub_f32_e32 v51, v20, v37
	v_fmamk_f32 v37, v42, 0x3ecccccc, v37
	v_fmac_f32_e32 v43, v14, v40
	v_cndmask_b32_e32 v45, v48, v45, vcc_lo
	v_add_f32_e32 v41, v34, v41
	v_fma_f32 v48, v38, v14, v21
	v_fma_f32 v14, v38, v37, v29
	;; [unrolled: 1-line block ×3, first 2 shown]
	v_add_f32_e32 v9, v28, v9
	v_add_f32_e32 v41, v41, v45
	;; [unrolled: 1-line block ×3, first 2 shown]
	v_fma_f32 v37, v40, v37, v25
	v_add_f32_e32 v40, v24, v43
	v_mul_f32_e32 v39, v46, v41
	v_fmac_f32_e32 v32, v44, v39
	v_fmac_f32_e32 v33, v51, v39
	;; [unrolled: 1-line block ×20, first 2 shown]
.LBB3_21:
	s_or_b32 exec_lo, exec_lo, s25
	s_waitcnt vmcnt(0)
	v_mad_u64_u32 v[9:10], null, s24, -7, v[12:13]
	s_mov_b32 s0, exec_lo
	v_add_nc_u32_e32 v11, s3, v9
	v_ashrrev_i32_e32 v10, 31, v9
	v_add_nc_u32_e32 v8, s3, v11
	v_ashrrev_i32_e32 v12, 31, v11
	v_lshlrev_b64 v[13:14], 2, v[9:10]
	v_ashrrev_i32_e32 v9, 31, v8
	v_lshlrev_b64 v[10:11], 2, v[11:12]
	v_add_co_u32 v37, vcc_lo, s8, v13
	v_lshlrev_b64 v[39:40], 2, v[8:9]
	v_add_co_ci_u32_e64 v38, null, s9, v14, vcc_lo
	v_add_co_u32 v12, vcc_lo, s10, v13
	v_add_co_ci_u32_e64 v13, null, s11, v14, vcc_lo
	v_add_co_u32 v10, vcc_lo, s10, v10
	global_load_dword v9, v[37:38], off
	v_add_co_ci_u32_e64 v11, null, s11, v11, vcc_lo
	v_add_co_u32 v37, vcc_lo, s10, v39
	v_add_co_ci_u32_e64 v38, null, s11, v40, vcc_lo
	s_clause 0x2
	global_load_dword v13, v[12:13], off
	global_load_dword v12, v[10:11], off
	;; [unrolled: 1-line block ×3, first 2 shown]
	s_waitcnt vmcnt(3)
	v_cmpx_gt_i32_e32 0, v9
	s_xor_b32 s0, exec_lo, s0
	s_cbranch_execz .LBB3_29
; %bb.22:
	s_mov_b32 s1, exec_lo
	v_cmpx_lt_i32_e32 -2, v9
	s_xor_b32 s1, exec_lo, s1
	s_cbranch_execz .LBB3_24
; %bb.23:
	s_waitcnt vmcnt(2)
	v_fmac_f32_e32 v31, v36, v13
	s_waitcnt vmcnt(1)
	v_fmac_f32_e32 v30, v36, v12
	s_waitcnt vmcnt(0)
	v_fmac_f32_e32 v15, v36, v11
                                        ; implicit-def: $vgpr9
                                        ; implicit-def: $vgpr13
                                        ; implicit-def: $vgpr12
                                        ; implicit-def: $vgpr11
.LBB3_24:
	s_andn2_saveexec_b32 s1, s1
	s_cbranch_execz .LBB3_28
; %bb.25:
	s_mov_b32 s25, exec_lo
	v_cmpx_eq_u32_e32 -2, v9
	s_cbranch_execz .LBB3_27
; %bb.26:
	s_load_dwordx2 s[26:27], s[14:15], 0x4
	s_load_dwordx2 s[28:29], s[18:19], 0x0
	;; [unrolled: 1-line block ×5, first 2 shown]
	s_load_dword s33, s[14:15], 0xc
	s_load_dword s38, s[18:19], 0x8
	;; [unrolled: 1-line block ×5, first 2 shown]
	s_waitcnt vmcnt(2)
	v_mul_f32_e32 v9, 0.5, v13
	s_waitcnt vmcnt(1)
	v_mul_f32_e32 v10, 0.5, v12
	s_waitcnt lgkmcnt(0)
	v_add_f32_e32 v12, s26, v18
	v_add_f32_e32 v13, s28, v29
	;; [unrolled: 1-line block ×10, first 2 shown]
	v_fmac_f32_e32 v32, v9, v12
	v_fmac_f32_e32 v33, v9, v13
	;; [unrolled: 1-line block ×10, first 2 shown]
	s_waitcnt vmcnt(0)
	v_mul_f32_e32 v9, 0.5, v11
	v_add_f32_e32 v10, s33, v16
	v_add_f32_e32 v11, s38, v25
	;; [unrolled: 1-line block ×5, first 2 shown]
	v_fmac_f32_e32 v32, v9, v10
	v_fmac_f32_e32 v33, v9, v11
	;; [unrolled: 1-line block ×5, first 2 shown]
.LBB3_27:
	s_or_b32 exec_lo, exec_lo, s25
.LBB3_28:
	s_or_b32 exec_lo, exec_lo, s1
                                        ; implicit-def: $vgpr9
                                        ; implicit-def: $vgpr13
                                        ; implicit-def: $vgpr12
                                        ; implicit-def: $vgpr11
.LBB3_29:
	s_andn2_saveexec_b32 s25, s0
	s_cbranch_execz .LBB3_31
; %bb.30:
	v_add_nc_u32_e32 v37, s24, v9
	v_mov_b32_e32 v10, 0
	v_add_nc_u32_e32 v39, s24, v37
	v_ashrrev_i32_e32 v38, 31, v37
	v_lshlrev_b64 v[9:10], 2, v[9:10]
	v_ashrrev_i32_e32 v40, 31, v39
	v_lshlrev_b64 v[37:38], 2, v[37:38]
	v_add_nc_u32_e32 v41, s24, v39
	v_add_co_u32 v9, vcc_lo, s12, v9
	v_lshlrev_b64 v[39:40], 2, v[39:40]
	v_add_co_ci_u32_e64 v10, null, s13, v10, vcc_lo
	v_ashrrev_i32_e32 v42, 31, v41
	v_add_co_u32 v37, vcc_lo, s12, v37
	v_add_co_ci_u32_e64 v38, null, s13, v38, vcc_lo
	v_add_co_u32 v39, vcc_lo, s12, v39
	v_add_co_ci_u32_e64 v40, null, s13, v40, vcc_lo
	v_lshlrev_b64 v[42:43], 2, v[41:42]
	s_clause 0x2
	global_load_dword v44, v[9:10], off
	global_load_dword v10, v[37:38], off
	;; [unrolled: 1-line block ×3, first 2 shown]
	v_add_co_u32 v37, vcc_lo, s12, v42
	v_add_co_ci_u32_e64 v38, null, s13, v43, vcc_lo
	global_load_dword v14, v[37:38], off
	v_add_nc_u32_e32 v37, s24, v41
	v_ashrrev_i32_e32 v38, 31, v37
	v_lshlrev_b64 v[37:38], 2, v[37:38]
	v_add_co_u32 v37, vcc_lo, s12, v37
	v_add_co_ci_u32_e64 v38, null, s13, v38, vcc_lo
	global_load_dword v37, v[37:38], off
	s_waitcnt vmcnt(3)
	v_div_scale_f32 v38, null, v44, v44, v10
	s_waitcnt vmcnt(2)
	v_div_scale_f32 v39, null, v44, v44, v9
	v_div_scale_f32 v47, vcc_lo, v10, v44, v10
	v_rcp_f32_e32 v40, v38
	v_rcp_f32_e32 v41, v39
	s_waitcnt vmcnt(1)
	v_div_scale_f32 v42, null, v44, v44, v14
	v_div_scale_f32 v50, s1, v14, v44, v14
	v_fma_f32 v43, -v38, v40, 1.0
	v_rcp_f32_e32 v45, v42
	v_fma_f32 v46, -v39, v41, 1.0
	v_fmac_f32_e32 v40, v43, v40
	v_div_scale_f32 v43, s0, v9, v44, v9
	v_fmac_f32_e32 v41, v46, v41
	v_mul_f32_e32 v46, v47, v40
	v_fma_f32 v48, -v42, v45, 1.0
	v_mul_f32_e32 v49, v43, v41
	v_fma_f32 v51, -v38, v46, v47
	v_fmac_f32_e32 v45, v48, v45
	v_fma_f32 v48, -v39, v49, v43
	v_fmac_f32_e32 v46, v51, v40
	v_mul_f32_e32 v51, v50, v45
	v_fmac_f32_e32 v49, v48, v41
	v_fma_f32 v38, -v38, v46, v47
	v_fma_f32 v47, -v42, v51, v50
	;; [unrolled: 1-line block ×3, first 2 shown]
	v_div_fmas_f32 v38, v38, v40, v46
	s_mov_b32 vcc_lo, s0
	v_fmac_f32_e32 v51, v47, v45
	v_div_fmas_f32 v39, v39, v41, v49
	s_mov_b32 vcc_lo, s1
	v_div_fixup_f32 v38, v38, v44, v10
	v_mul_f32_e32 v46, v12, v12
	v_fma_f32 v40, -v42, v51, v50
	v_div_fixup_f32 v39, v39, v44, v9
	v_mul_f32_e32 v42, 0.5, v44
	v_mul_f32_e32 v12, 0.5, v12
	v_fmac_f32_e32 v46, v13, v13
	v_div_fmas_f32 v40, v40, v45, v51
	v_mul_f32_e32 v41, v39, v39
	v_fma_f32 v56, v14, v39, v22
	v_mul_f32_e32 v13, 0.5, v13
	v_fmac_f32_e32 v46, v11, v11
	v_div_fixup_f32 v40, v40, v44, v14
	v_fmac_f32_e32 v41, v38, v38
	v_mul_f32_e32 v11, 0.5, v11
	v_mul_f32_e32 v49, 0x4f800000, v46
	v_cmp_gt_f32_e64 s0, 0xf800000, v46
	v_fmac_f32_e32 v41, v40, v40
	v_cndmask_b32_e64 v46, v46, v49, s0
	s_waitcnt vmcnt(0)
	v_fma_f32 v42, -v42, v41, v37
	v_mul_f32_e32 v55, 0x4f800000, v41
	v_mul_f32_e32 v43, 0x3ecccccc, v42
	;; [unrolled: 1-line block ×3, first 2 shown]
	v_div_scale_f32 v47, null, v44, v44, v45
	v_div_scale_f32 v49, vcc_lo, v45, v44, v45
	v_rcp_f32_e32 v48, v47
	v_fma_f32 v50, -v47, v48, 1.0
	v_fmac_f32_e32 v48, v50, v48
	v_sqrt_f32_e32 v50, v46
	v_mul_f32_e32 v51, v49, v48
	v_fma_f32 v52, -v47, v51, v49
	v_add_nc_u32_e32 v53, -1, v50
	v_fmac_f32_e32 v51, v52, v48
	v_add_nc_u32_e32 v52, 1, v50
	v_fma_f32 v54, -v53, v50, v46
	v_fma_f32 v47, -v47, v51, v49
	;; [unrolled: 1-line block ×3, first 2 shown]
	v_cmp_ge_f32_e64 s1, 0, v54
	v_add_f32_e32 v54, v16, v14
	v_div_fmas_f32 v47, v47, v48, v51
	v_cmp_gt_f32_e32 vcc_lo, 0xf800000, v41
	v_cndmask_b32_e64 v48, v50, v53, s1
	v_cmp_lt_f32_e64 s1, 0, v49
	v_div_fixup_f32 v45, v47, v44, v45
	v_cndmask_b32_e32 v41, v41, v55, vcc_lo
	v_sub_f32_e32 v44, v19, v44
	v_cndmask_b32_e64 v48, v48, v52, s1
	v_fma_f32 v55, v9, v38, v23
	v_mul_f32_e32 v49, 0x4f800000, v45
	v_sqrt_f32_e32 v47, v41
	v_cmp_gt_f32_e64 s1, 0xf800000, v45
	v_mul_f32_e32 v50, 0x37800000, v48
	v_cndmask_b32_e64 v45, v45, v49, s1
	v_cndmask_b32_e64 v48, v48, v50, s0
	v_cmp_class_f32_e64 s0, v46, 0x260
	v_add_nc_u32_e32 v49, -1, v47
	v_sqrt_f32_e32 v50, v45
	v_add_nc_u32_e32 v51, 1, v47
	v_cndmask_b32_e64 v46, v48, v46, s0
	v_fma_f32 v52, -v49, v47, v41
	v_fma_f32 v48, -v51, v47, v41
	v_mul_f32_e32 v46, 0xbe4ccccd, v46
	v_cmp_ge_f32_e64 s0, 0, v52
	v_mul_f32_e32 v46, 0.5, v46
	v_cndmask_b32_e64 v47, v47, v49, s0
	v_add_nc_u32_e32 v49, -1, v50
	v_cmp_lt_f32_e64 s0, 0, v48
	v_add_nc_u32_e32 v48, 1, v50
	v_cndmask_b32_e64 v47, v47, v51, s0
	v_fma_f32 v51, -v49, v50, v45
	v_fma_f32 v53, -v48, v50, v45
	v_mul_f32_e32 v52, 0x37800000, v47
	v_cmp_ge_f32_e64 s0, 0, v51
	v_cndmask_b32_e32 v47, v47, v52, vcc_lo
	v_cndmask_b32_e64 v49, v50, v49, s0
	v_cmp_lt_f32_e32 vcc_lo, 0, v53
	v_sub_f32_e32 v50, v18, v10
	v_add_f32_e32 v52, v17, v9
	v_sub_f32_e32 v53, v16, v14
	v_cndmask_b32_e32 v48, v49, v48, vcc_lo
	v_cmp_class_f32_e64 vcc_lo, v41, 0x260
	v_add_f32_e32 v49, v18, v10
	v_fma_f32 v10, v10, v38, v43
	v_mul_f32_e32 v51, 0x37800000, v48
	v_cndmask_b32_e32 v41, v47, v41, vcc_lo
	v_cmp_class_f32_e64 vcc_lo, v45, 0x260
	v_sub_f32_e32 v47, v17, v9
	v_fma_f32 v9, v9, v39, v43
	v_cndmask_b32_e64 v48, v48, v51, s1
	v_add_f32_e32 v41, v35, v41
	v_sub_f32_e32 v51, v20, v37
	v_fmamk_f32 v37, v42, 0x3ecccccc, v37
	v_fmac_f32_e32 v43, v14, v40
	v_cndmask_b32_e32 v45, v48, v45, vcc_lo
	v_add_f32_e32 v41, v34, v41
	v_fma_f32 v48, v38, v14, v21
	v_fma_f32 v14, v38, v37, v29
	v_fma_f32 v38, v39, v37, v27
	v_add_f32_e32 v10, v28, v10
	v_add_f32_e32 v41, v41, v45
	;; [unrolled: 1-line block ×3, first 2 shown]
	v_fma_f32 v37, v40, v37, v25
	v_add_f32_e32 v40, v24, v43
	v_mul_f32_e32 v39, v46, v41
	v_fmac_f32_e32 v32, v44, v39
	v_fmac_f32_e32 v33, v51, v39
	;; [unrolled: 1-line block ×20, first 2 shown]
.LBB3_31:
	s_or_b32 exec_lo, exec_lo, s25
	v_add_nc_u32_e32 v8, s2, v8
	s_waitcnt vmcnt(1)
	v_add_co_u32 v12, vcc_lo, s8, v2
	v_add_co_ci_u32_e64 v13, null, s9, v3, vcc_lo
	v_add_nc_u32_e32 v10, s3, v8
	v_ashrrev_i32_e32 v9, 31, v8
	v_add_co_u32 v39, vcc_lo, s10, v2
	v_add_co_ci_u32_e64 v40, null, s11, v3, vcc_lo
	s_waitcnt vmcnt(0)
	v_ashrrev_i32_e32 v11, 31, v10
	v_lshlrev_b64 v[37:38], 2, v[8:9]
	global_load_dword v8, v[12:13], off
	s_mov_b32 s0, exec_lo
	v_lshlrev_b64 v[9:10], 2, v[10:11]
	v_add_co_u32 v13, vcc_lo, s10, v37
	v_add_co_ci_u32_e64 v14, null, s11, v38, vcc_lo
	v_add_co_u32 v9, vcc_lo, s10, v9
	v_add_co_ci_u32_e64 v10, null, s11, v10, vcc_lo
	s_clause 0x2
	global_load_dword v12, v[39:40], off
	global_load_dword v11, v[13:14], off
	;; [unrolled: 1-line block ×3, first 2 shown]
	s_waitcnt vmcnt(3)
	v_cmpx_gt_i32_e32 0, v8
	s_xor_b32 s0, exec_lo, s0
	s_cbranch_execz .LBB3_39
; %bb.32:
	s_mov_b32 s1, exec_lo
	v_cmpx_lt_i32_e32 -2, v8
	s_xor_b32 s1, exec_lo, s1
	s_cbranch_execz .LBB3_34
; %bb.33:
	s_waitcnt vmcnt(2)
	v_fmac_f32_e32 v31, v36, v12
	s_waitcnt vmcnt(1)
	v_fmac_f32_e32 v30, v36, v11
	;; [unrolled: 2-line block ×3, first 2 shown]
                                        ; implicit-def: $vgpr18
                                        ; implicit-def: $vgpr17
                                        ; implicit-def: $vgpr16
                                        ; implicit-def: $vgpr28
                                        ; implicit-def: $vgpr23
                                        ; implicit-def: $vgpr21
                                        ; implicit-def: $vgpr26
                                        ; implicit-def: $vgpr22
                                        ; implicit-def: $vgpr24
                                        ; implicit-def: $vgpr29
                                        ; implicit-def: $vgpr27
                                        ; implicit-def: $vgpr25
                                        ; implicit-def: $vgpr8
                                        ; implicit-def: $vgpr12
                                        ; implicit-def: $vgpr11
                                        ; implicit-def: $vgpr10
.LBB3_34:
	s_andn2_saveexec_b32 s1, s1
	s_cbranch_execz .LBB3_38
; %bb.35:
	s_mov_b32 s2, exec_lo
	v_cmpx_eq_u32_e32 -2, v8
	s_cbranch_execz .LBB3_37
; %bb.36:
	s_load_dwordx2 s[8:9], s[14:15], 0x4
	s_load_dwordx2 s[10:11], s[18:19], 0x0
	;; [unrolled: 1-line block ×5, first 2 shown]
	s_load_dword s3, s[14:15], 0xc
	s_load_dword s14, s[18:19], 0x8
	;; [unrolled: 1-line block ×5, first 2 shown]
	s_waitcnt vmcnt(2)
	v_mul_f32_e32 v8, 0.5, v12
	s_waitcnt vmcnt(1)
	v_mul_f32_e32 v9, 0.5, v11
	s_waitcnt lgkmcnt(0)
	v_add_f32_e32 v11, s8, v18
	v_add_f32_e32 v12, s10, v29
	;; [unrolled: 1-line block ×10, first 2 shown]
	v_fmac_f32_e32 v32, v8, v11
	v_fmac_f32_e32 v33, v8, v12
	;; [unrolled: 1-line block ×10, first 2 shown]
	s_waitcnt vmcnt(0)
	v_mul_f32_e32 v8, 0.5, v10
	v_add_f32_e32 v9, s3, v16
	v_add_f32_e32 v10, s14, v25
	;; [unrolled: 1-line block ×5, first 2 shown]
	v_fmac_f32_e32 v32, v8, v9
	v_fmac_f32_e32 v33, v8, v10
	;; [unrolled: 1-line block ×5, first 2 shown]
.LBB3_37:
	s_or_b32 exec_lo, exec_lo, s2
.LBB3_38:
	s_or_b32 exec_lo, exec_lo, s1
                                        ; implicit-def: $vgpr19
                                        ; implicit-def: $vgpr18
                                        ; implicit-def: $vgpr17
                                        ; implicit-def: $vgpr16
                                        ; implicit-def: $vgpr20
                                        ; implicit-def: $vgpr35
                                        ; implicit-def: $vgpr34
                                        ; implicit-def: $vgpr28
                                        ; implicit-def: $vgpr23
                                        ; implicit-def: $vgpr21
                                        ; implicit-def: $vgpr26
                                        ; implicit-def: $vgpr22
                                        ; implicit-def: $vgpr24
                                        ; implicit-def: $vgpr29
                                        ; implicit-def: $vgpr27
                                        ; implicit-def: $vgpr25
                                        ; implicit-def: $vgpr8
                                        ; implicit-def: $vgpr12
                                        ; implicit-def: $vgpr11
                                        ; implicit-def: $vgpr10
.LBB3_39:
	s_andn2_saveexec_b32 s2, s0
	s_cbranch_execz .LBB3_41
; %bb.40:
	v_add_nc_u32_e32 v13, s24, v8
	v_mov_b32_e32 v9, 0
	v_add_nc_u32_e32 v36, s24, v13
	v_ashrrev_i32_e32 v14, 31, v13
	v_lshlrev_b64 v[8:9], 2, v[8:9]
	v_ashrrev_i32_e32 v37, 31, v36
	v_lshlrev_b64 v[13:14], 2, v[13:14]
	v_add_nc_u32_e32 v38, s24, v36
	v_add_co_u32 v8, vcc_lo, s12, v8
	v_lshlrev_b64 v[36:37], 2, v[36:37]
	v_add_co_ci_u32_e64 v9, null, s13, v9, vcc_lo
	v_ashrrev_i32_e32 v39, 31, v38
	v_add_co_u32 v13, vcc_lo, s12, v13
	v_add_co_ci_u32_e64 v14, null, s13, v14, vcc_lo
	v_add_co_u32 v36, vcc_lo, s12, v36
	v_add_co_ci_u32_e64 v37, null, s13, v37, vcc_lo
	v_lshlrev_b64 v[39:40], 2, v[38:39]
	s_clause 0x2
	global_load_dword v41, v[8:9], off
	global_load_dword v9, v[13:14], off
	;; [unrolled: 1-line block ×3, first 2 shown]
	v_add_nc_u32_e32 v36, s24, v38
	v_add_co_u32 v13, vcc_lo, s12, v39
	v_add_co_ci_u32_e64 v14, null, s13, v40, vcc_lo
	v_ashrrev_i32_e32 v37, 31, v36
	global_load_dword v13, v[13:14], off
	v_lshlrev_b64 v[36:37], 2, v[36:37]
	v_add_co_u32 v36, vcc_lo, s12, v36
	v_add_co_ci_u32_e64 v37, null, s13, v37, vcc_lo
	global_load_dword v14, v[36:37], off
	s_waitcnt vmcnt(4)
	v_sub_f32_e32 v19, v19, v41
	s_waitcnt vmcnt(3)
	v_div_scale_f32 v36, null, v41, v41, v9
	s_waitcnt vmcnt(2)
	v_div_scale_f32 v37, null, v41, v41, v8
	v_div_scale_f32 v45, vcc_lo, v9, v41, v9
	v_rcp_f32_e32 v38, v36
	v_rcp_f32_e32 v39, v37
	s_waitcnt vmcnt(1)
	v_div_scale_f32 v40, null, v41, v41, v13
	v_div_scale_f32 v48, s1, v13, v41, v13
	v_fma_f32 v42, -v36, v38, 1.0
	v_rcp_f32_e32 v43, v40
	v_fma_f32 v44, -v37, v39, 1.0
	v_fmac_f32_e32 v38, v42, v38
	v_div_scale_f32 v42, s0, v8, v41, v8
	v_fmac_f32_e32 v39, v44, v39
	v_mul_f32_e32 v44, v45, v38
	v_fma_f32 v46, -v40, v43, 1.0
	s_waitcnt vmcnt(0)
	v_sub_f32_e32 v20, v20, v14
	v_mul_f32_e32 v47, v42, v39
	v_fma_f32 v49, -v36, v44, v45
	v_fmac_f32_e32 v43, v46, v43
	v_fma_f32 v46, -v37, v47, v42
	v_fmac_f32_e32 v44, v49, v38
	v_mul_f32_e32 v49, v48, v43
	v_fmac_f32_e32 v47, v46, v39
	v_fma_f32 v36, -v36, v44, v45
	v_fma_f32 v45, -v40, v49, v48
	;; [unrolled: 1-line block ×3, first 2 shown]
	v_div_fmas_f32 v36, v36, v38, v44
	s_mov_b32 vcc_lo, s0
	v_fmac_f32_e32 v49, v45, v43
	v_div_fmas_f32 v37, v37, v39, v47
	s_mov_b32 vcc_lo, s1
	v_div_fixup_f32 v36, v36, v41, v9
	v_mul_f32_e32 v44, v11, v11
	v_fma_f32 v38, -v40, v49, v48
	v_div_fixup_f32 v37, v37, v41, v8
	v_mul_f32_e32 v40, 0.5, v41
	v_fmac_f32_e32 v23, v8, v36
	v_fmac_f32_e32 v44, v12, v12
	v_div_fmas_f32 v38, v38, v43, v49
	v_mul_f32_e32 v39, v37, v37
	v_fmac_f32_e32 v21, v36, v13
	v_fmac_f32_e32 v22, v13, v37
	;; [unrolled: 1-line block ×3, first 2 shown]
	v_div_fixup_f32 v38, v38, v41, v13
	v_fmac_f32_e32 v39, v36, v36
	v_mul_f32_e32 v12, 0.5, v12
	v_mul_f32_e32 v11, 0.5, v11
	v_mul_f32_e32 v47, 0x4f800000, v44
	v_cmp_gt_f32_e64 s0, 0xf800000, v44
	v_fmac_f32_e32 v39, v38, v38
	v_mul_f32_e32 v10, 0.5, v10
	v_cndmask_b32_e64 v44, v44, v47, s0
	v_fma_f32 v40, -v40, v39, v14
	v_mul_f32_e32 v53, 0x4f800000, v39
	v_mul_f32_e32 v42, 0x3ecccccc, v40
	v_fmamk_f32 v14, v40, 0x3ecccccc, v14
	v_mul_f32_e32 v43, 0x3fb33333, v42
	v_fmac_f32_e32 v29, v36, v14
	v_fmac_f32_e32 v27, v37, v14
	;; [unrolled: 1-line block ×3, first 2 shown]
	v_div_scale_f32 v45, null, v41, v41, v43
	v_div_scale_f32 v47, vcc_lo, v43, v41, v43
	v_rcp_f32_e32 v46, v45
	v_fma_f32 v48, -v45, v46, 1.0
	v_fmac_f32_e32 v46, v48, v46
	v_sqrt_f32_e32 v48, v44
	v_mul_f32_e32 v49, v47, v46
	v_fma_f32 v50, -v45, v49, v47
	v_add_nc_u32_e32 v51, -1, v48
	v_fmac_f32_e32 v49, v50, v46
	v_add_nc_u32_e32 v50, 1, v48
	v_fma_f32 v52, -v51, v48, v44
	v_fma_f32 v45, -v45, v49, v47
	;; [unrolled: 1-line block ×3, first 2 shown]
	v_cmp_ge_f32_e64 s1, 0, v52
	v_div_fmas_f32 v45, v45, v46, v49
	v_cmp_gt_f32_e32 vcc_lo, 0xf800000, v39
	v_cndmask_b32_e64 v46, v48, v51, s1
	v_cmp_lt_f32_e64 s1, 0, v47
	v_div_fixup_f32 v43, v45, v41, v43
	v_cndmask_b32_e32 v39, v39, v53, vcc_lo
	v_sub_f32_e32 v41, v18, v9
	v_cndmask_b32_e64 v46, v46, v50, s1
	v_add_f32_e32 v18, v18, v9
	v_mul_f32_e32 v47, 0x4f800000, v43
	v_sqrt_f32_e32 v45, v39
	v_cmp_gt_f32_e64 s1, 0xf800000, v43
	v_mul_f32_e32 v48, 0x37800000, v46
	v_fma_f32 v9, v9, v36, v42
	v_cndmask_b32_e64 v43, v43, v47, s1
	v_cndmask_b32_e64 v46, v46, v48, s0
	v_cmp_class_f32_e64 s0, v44, 0x260
	v_add_f32_e32 v9, v28, v9
	v_add_nc_u32_e32 v47, -1, v45
	v_sqrt_f32_e32 v48, v43
	v_add_nc_u32_e32 v49, 1, v45
	v_cndmask_b32_e64 v44, v46, v44, s0
	v_fma_f32 v50, -v47, v45, v39
	v_fma_f32 v46, -v49, v45, v39
	v_mul_f32_e32 v44, 0xbe4ccccd, v44
	v_cmp_ge_f32_e64 s0, 0, v50
	v_mul_f32_e32 v44, 0.5, v44
	v_cndmask_b32_e64 v45, v45, v47, s0
	v_add_nc_u32_e32 v47, -1, v48
	v_cmp_lt_f32_e64 s0, 0, v46
	v_add_nc_u32_e32 v46, 1, v48
	v_cndmask_b32_e64 v45, v45, v49, s0
	v_fma_f32 v49, -v47, v48, v43
	v_fma_f32 v51, -v46, v48, v43
	v_mul_f32_e32 v50, 0x37800000, v45
	v_cmp_ge_f32_e64 s0, 0, v49
	v_cndmask_b32_e32 v45, v45, v50, vcc_lo
	v_cndmask_b32_e64 v47, v48, v47, s0
	v_cmp_lt_f32_e32 vcc_lo, 0, v51
	v_sub_f32_e32 v48, v16, v13
	v_add_f32_e32 v16, v16, v13
	v_cndmask_b32_e32 v46, v47, v46, vcc_lo
	v_cmp_class_f32_e64 vcc_lo, v39, 0x260
	v_mul_f32_e32 v47, 0x37800000, v46
	v_cndmask_b32_e32 v39, v45, v39, vcc_lo
	v_cmp_class_f32_e64 vcc_lo, v43, 0x260
	v_sub_f32_e32 v45, v17, v8
	v_add_f32_e32 v17, v17, v8
	v_fma_f32 v8, v8, v37, v42
	v_add_f32_e32 v35, v35, v39
	v_cndmask_b32_e64 v39, v46, v47, s1
	v_fmac_f32_e32 v42, v13, v38
	v_add_f32_e32 v8, v26, v8
	v_add_f32_e32 v34, v34, v35
	v_cndmask_b32_e32 v35, v39, v43, vcc_lo
	v_add_f32_e32 v14, v24, v42
	v_add_f32_e32 v34, v34, v35
	v_mul_f32_e32 v13, v44, v34
	v_fmac_f32_e32 v32, v19, v13
	v_fmac_f32_e32 v33, v20, v13
	;; [unrolled: 1-line block ×20, first 2 shown]
.LBB3_41:
	s_or_b32 exec_lo, exec_lo, s2
	v_add_co_u32 v4, vcc_lo, s16, v4
	v_add_co_ci_u32_e64 v5, null, s17, v5, vcc_lo
	v_add_co_u32 v8, vcc_lo, v4, s6
	v_add_co_ci_u32_e64 v9, null, s7, v5, vcc_lo
	;; [unrolled: 2-line block ×5, first 2 shown]
	global_store_dword v[4:5], v32, off
	global_store_dword v[8:9], v31, off
	;; [unrolled: 1-line block ×5, first 2 shown]
.LBB3_42:
	s_endpgm
	.section	.rodata,"a",@progbits
	.p2align	6, 0x0
	.amdhsa_kernel _Z12compute_fluxiPiPfS0_S0_S0_P6Float3S2_S2_S2_
		.amdhsa_group_segment_fixed_size 0
		.amdhsa_private_segment_fixed_size 0
		.amdhsa_kernarg_size 336
		.amdhsa_user_sgpr_count 6
		.amdhsa_user_sgpr_private_segment_buffer 1
		.amdhsa_user_sgpr_dispatch_ptr 0
		.amdhsa_user_sgpr_queue_ptr 0
		.amdhsa_user_sgpr_kernarg_segment_ptr 1
		.amdhsa_user_sgpr_dispatch_id 0
		.amdhsa_user_sgpr_flat_scratch_init 0
		.amdhsa_user_sgpr_private_segment_size 0
		.amdhsa_wavefront_size32 1
		.amdhsa_uses_dynamic_stack 0
		.amdhsa_system_sgpr_private_segment_wavefront_offset 0
		.amdhsa_system_sgpr_workgroup_id_x 1
		.amdhsa_system_sgpr_workgroup_id_y 0
		.amdhsa_system_sgpr_workgroup_id_z 0
		.amdhsa_system_sgpr_workgroup_info 0
		.amdhsa_system_vgpr_workitem_id 0
		.amdhsa_next_free_vgpr 57
		.amdhsa_next_free_sgpr 42
		.amdhsa_reserve_vcc 1
		.amdhsa_reserve_flat_scratch 0
		.amdhsa_float_round_mode_32 0
		.amdhsa_float_round_mode_16_64 0
		.amdhsa_float_denorm_mode_32 3
		.amdhsa_float_denorm_mode_16_64 3
		.amdhsa_dx10_clamp 1
		.amdhsa_ieee_mode 1
		.amdhsa_fp16_overflow 0
		.amdhsa_workgroup_processor_mode 1
		.amdhsa_memory_ordered 1
		.amdhsa_forward_progress 1
		.amdhsa_shared_vgpr_count 0
		.amdhsa_exception_fp_ieee_invalid_op 0
		.amdhsa_exception_fp_denorm_src 0
		.amdhsa_exception_fp_ieee_div_zero 0
		.amdhsa_exception_fp_ieee_overflow 0
		.amdhsa_exception_fp_ieee_underflow 0
		.amdhsa_exception_fp_ieee_inexact 0
		.amdhsa_exception_int_div_zero 0
	.end_amdhsa_kernel
	.text
.Lfunc_end3:
	.size	_Z12compute_fluxiPiPfS0_S0_S0_P6Float3S2_S2_S2_, .Lfunc_end3-_Z12compute_fluxiPiPfS0_S0_S0_P6Float3S2_S2_S2_
                                        ; -- End function
	.set _Z12compute_fluxiPiPfS0_S0_S0_P6Float3S2_S2_S2_.num_vgpr, 57
	.set _Z12compute_fluxiPiPfS0_S0_S0_P6Float3S2_S2_S2_.num_agpr, 0
	.set _Z12compute_fluxiPiPfS0_S0_S0_P6Float3S2_S2_S2_.numbered_sgpr, 42
	.set _Z12compute_fluxiPiPfS0_S0_S0_P6Float3S2_S2_S2_.num_named_barrier, 0
	.set _Z12compute_fluxiPiPfS0_S0_S0_P6Float3S2_S2_S2_.private_seg_size, 0
	.set _Z12compute_fluxiPiPfS0_S0_S0_P6Float3S2_S2_S2_.uses_vcc, 1
	.set _Z12compute_fluxiPiPfS0_S0_S0_P6Float3S2_S2_S2_.uses_flat_scratch, 0
	.set _Z12compute_fluxiPiPfS0_S0_S0_P6Float3S2_S2_S2_.has_dyn_sized_stack, 0
	.set _Z12compute_fluxiPiPfS0_S0_S0_P6Float3S2_S2_S2_.has_recursion, 0
	.set _Z12compute_fluxiPiPfS0_S0_S0_P6Float3S2_S2_S2_.has_indirect_call, 0
	.section	.AMDGPU.csdata,"",@progbits
; Kernel info:
; codeLenInByte = 7584
; TotalNumSgprs: 44
; NumVgprs: 57
; ScratchSize: 0
; MemoryBound: 0
; FloatMode: 240
; IeeeMode: 1
; LDSByteSize: 0 bytes/workgroup (compile time only)
; SGPRBlocks: 0
; VGPRBlocks: 7
; NumSGPRsForWavesPerEU: 44
; NumVGPRsForWavesPerEU: 57
; Occupancy: 16
; WaveLimiterHint : 1
; COMPUTE_PGM_RSRC2:SCRATCH_EN: 0
; COMPUTE_PGM_RSRC2:USER_SGPR: 6
; COMPUTE_PGM_RSRC2:TRAP_HANDLER: 0
; COMPUTE_PGM_RSRC2:TGID_X_EN: 1
; COMPUTE_PGM_RSRC2:TGID_Y_EN: 0
; COMPUTE_PGM_RSRC2:TGID_Z_EN: 0
; COMPUTE_PGM_RSRC2:TIDIG_COMP_CNT: 0
	.text
	.protected	_Z9time_stepiiPKfPfS0_S0_ ; -- Begin function _Z9time_stepiiPKfPfS0_S0_
	.globl	_Z9time_stepiiPKfPfS0_S0_
	.p2align	8
	.type	_Z9time_stepiiPKfPfS0_S0_,@function
_Z9time_stepiiPKfPfS0_S0_:              ; @_Z9time_stepiiPKfPfS0_S0_
; %bb.0:
	s_clause 0x1
	s_load_dword s0, s[4:5], 0x34
	s_load_dwordx2 s[8:9], s[4:5], 0x0
	s_waitcnt lgkmcnt(0)
	s_and_b32 s0, s0, 0xffff
	v_mad_u64_u32 v[0:1], null, s6, s0, v[0:1]
	s_mov_b32 s0, exec_lo
	v_cmpx_gt_i32_e64 s9, v0
	s_cbranch_execz .LBB4_2
; %bb.1:
	s_load_dwordx8 s[0:7], s[4:5], 0x8
	v_ashrrev_i32_e32 v1, 31, v0
	s_ashr_i32 s11, s9, 31
	s_mov_b32 s10, s9
	s_lshl_b64 s[10:11], s[10:11], 2
	v_lshlrev_b64 v[1:2], 2, v[0:1]
	s_waitcnt lgkmcnt(0)
	v_add_co_u32 v3, vcc_lo, s4, v1
	v_add_co_ci_u32_e64 v4, null, s5, v2, vcc_lo
	s_sub_i32 s4, 4, s8
	v_cvt_f32_i32_e32 v8, s4
	global_load_dword v7, v[3:4], off
	v_add_co_u32 v3, vcc_lo, s0, v1
	v_add_co_ci_u32_e64 v4, null, s1, v2, vcc_lo
	v_add_co_u32 v5, vcc_lo, s6, v1
	v_add_co_ci_u32_e64 v6, null, s7, v2, vcc_lo
	global_load_dword v11, v[3:4], off
	global_load_dword v9, v[5:6], off
	s_lshl_b32 s4, s9, 2
	s_ashr_i32 s5, s4, 31
	s_lshl_b64 s[4:5], s[4:5], 2
	s_waitcnt vmcnt(2)
	v_div_scale_f32 v10, null, v8, v8, v7
	v_div_scale_f32 v14, vcc_lo, v7, v8, v7
	v_rcp_f32_e32 v12, v10
	v_fma_f32 v13, -v10, v12, 1.0
	v_fmac_f32_e32 v12, v13, v12
	v_mul_f32_e32 v13, v14, v12
	v_fma_f32 v15, -v10, v13, v14
	v_fmac_f32_e32 v13, v15, v12
	v_fma_f32 v10, -v10, v13, v14
	v_div_fmas_f32 v10, v10, v12, v13
	v_add_co_u32 v1, vcc_lo, s2, v1
	v_add_co_ci_u32_e64 v2, null, s3, v2, vcc_lo
	v_div_fixup_f32 v12, v10, v8, v7
	v_add_co_u32 v7, vcc_lo, v3, s4
	v_add_co_ci_u32_e64 v8, null, s5, v4, vcc_lo
	s_waitcnt vmcnt(0)
	v_fmac_f32_e32 v11, v12, v9
	v_add_co_u32 v9, vcc_lo, v5, s4
	v_add_co_ci_u32_e64 v10, null, s5, v6, vcc_lo
	global_store_dword v[1:2], v11, off
	global_load_dword v11, v[7:8], off
	global_load_dword v9, v[9:10], off
	v_add_co_u32 v7, vcc_lo, v1, s4
	v_add_co_ci_u32_e64 v8, null, s5, v2, vcc_lo
	v_add_co_u32 v3, vcc_lo, v3, s10
	v_add_co_ci_u32_e64 v4, null, s11, v4, vcc_lo
	;; [unrolled: 2-line block ×3, first 2 shown]
	s_waitcnt vmcnt(0)
	v_fmac_f32_e32 v11, v12, v9
	global_store_dword v[7:8], v11, off
	global_load_dword v10, v[3:4], off
	global_load_dword v8, v[5:6], off
	v_add3_u32 v3, s9, s9, v0
	v_ashrrev_i32_e32 v4, 31, v3
	v_lshlrev_b64 v[4:5], 2, v[3:4]
	v_add_co_u32 v6, vcc_lo, s0, v4
	v_add_co_ci_u32_e64 v7, null, s1, v5, vcc_lo
	v_add_co_u32 v0, vcc_lo, v1, s10
	v_add_co_ci_u32_e64 v1, null, s11, v2, vcc_lo
	s_waitcnt vmcnt(0)
	v_fmac_f32_e32 v10, v12, v8
	v_add_co_u32 v8, vcc_lo, s6, v4
	v_add_co_ci_u32_e64 v9, null, s7, v5, vcc_lo
	global_store_dword v[0:1], v10, off
	global_load_dword v10, v[6:7], off
	global_load_dword v6, v[8:9], off
	v_add_nc_u32_e32 v0, s9, v3
	v_add_co_u32 v2, vcc_lo, s2, v4
	v_add_co_ci_u32_e64 v3, null, s3, v5, vcc_lo
	v_ashrrev_i32_e32 v1, 31, v0
	v_lshlrev_b64 v[0:1], 2, v[0:1]
	v_add_co_u32 v4, vcc_lo, s0, v0
	v_add_co_ci_u32_e64 v5, null, s1, v1, vcc_lo
	s_waitcnt vmcnt(0)
	v_fmac_f32_e32 v10, v12, v6
	v_add_co_u32 v6, vcc_lo, s6, v0
	v_add_co_ci_u32_e64 v7, null, s7, v1, vcc_lo
	global_store_dword v[2:3], v10, off
	global_load_dword v2, v[4:5], off
	global_load_dword v3, v[6:7], off
	v_add_co_u32 v0, vcc_lo, s2, v0
	v_add_co_ci_u32_e64 v1, null, s3, v1, vcc_lo
	s_waitcnt vmcnt(0)
	v_fmac_f32_e32 v2, v12, v3
	global_store_dword v[0:1], v2, off
.LBB4_2:
	s_endpgm
	.section	.rodata,"a",@progbits
	.p2align	6, 0x0
	.amdhsa_kernel _Z9time_stepiiPKfPfS0_S0_
		.amdhsa_group_segment_fixed_size 0
		.amdhsa_private_segment_fixed_size 0
		.amdhsa_kernarg_size 296
		.amdhsa_user_sgpr_count 6
		.amdhsa_user_sgpr_private_segment_buffer 1
		.amdhsa_user_sgpr_dispatch_ptr 0
		.amdhsa_user_sgpr_queue_ptr 0
		.amdhsa_user_sgpr_kernarg_segment_ptr 1
		.amdhsa_user_sgpr_dispatch_id 0
		.amdhsa_user_sgpr_flat_scratch_init 0
		.amdhsa_user_sgpr_private_segment_size 0
		.amdhsa_wavefront_size32 1
		.amdhsa_uses_dynamic_stack 0
		.amdhsa_system_sgpr_private_segment_wavefront_offset 0
		.amdhsa_system_sgpr_workgroup_id_x 1
		.amdhsa_system_sgpr_workgroup_id_y 0
		.amdhsa_system_sgpr_workgroup_id_z 0
		.amdhsa_system_sgpr_workgroup_info 0
		.amdhsa_system_vgpr_workitem_id 0
		.amdhsa_next_free_vgpr 16
		.amdhsa_next_free_sgpr 12
		.amdhsa_reserve_vcc 1
		.amdhsa_reserve_flat_scratch 0
		.amdhsa_float_round_mode_32 0
		.amdhsa_float_round_mode_16_64 0
		.amdhsa_float_denorm_mode_32 3
		.amdhsa_float_denorm_mode_16_64 3
		.amdhsa_dx10_clamp 1
		.amdhsa_ieee_mode 1
		.amdhsa_fp16_overflow 0
		.amdhsa_workgroup_processor_mode 1
		.amdhsa_memory_ordered 1
		.amdhsa_forward_progress 1
		.amdhsa_shared_vgpr_count 0
		.amdhsa_exception_fp_ieee_invalid_op 0
		.amdhsa_exception_fp_denorm_src 0
		.amdhsa_exception_fp_ieee_div_zero 0
		.amdhsa_exception_fp_ieee_overflow 0
		.amdhsa_exception_fp_ieee_underflow 0
		.amdhsa_exception_fp_ieee_inexact 0
		.amdhsa_exception_int_div_zero 0
	.end_amdhsa_kernel
	.text
.Lfunc_end4:
	.size	_Z9time_stepiiPKfPfS0_S0_, .Lfunc_end4-_Z9time_stepiiPKfPfS0_S0_
                                        ; -- End function
	.set _Z9time_stepiiPKfPfS0_S0_.num_vgpr, 16
	.set _Z9time_stepiiPKfPfS0_S0_.num_agpr, 0
	.set _Z9time_stepiiPKfPfS0_S0_.numbered_sgpr, 12
	.set _Z9time_stepiiPKfPfS0_S0_.num_named_barrier, 0
	.set _Z9time_stepiiPKfPfS0_S0_.private_seg_size, 0
	.set _Z9time_stepiiPKfPfS0_S0_.uses_vcc, 1
	.set _Z9time_stepiiPKfPfS0_S0_.uses_flat_scratch, 0
	.set _Z9time_stepiiPKfPfS0_S0_.has_dyn_sized_stack, 0
	.set _Z9time_stepiiPKfPfS0_S0_.has_recursion, 0
	.set _Z9time_stepiiPKfPfS0_S0_.has_indirect_call, 0
	.section	.AMDGPU.csdata,"",@progbits
; Kernel info:
; codeLenInByte = 652
; TotalNumSgprs: 14
; NumVgprs: 16
; ScratchSize: 0
; MemoryBound: 0
; FloatMode: 240
; IeeeMode: 1
; LDSByteSize: 0 bytes/workgroup (compile time only)
; SGPRBlocks: 0
; VGPRBlocks: 1
; NumSGPRsForWavesPerEU: 14
; NumVGPRsForWavesPerEU: 16
; Occupancy: 16
; WaveLimiterHint : 0
; COMPUTE_PGM_RSRC2:SCRATCH_EN: 0
; COMPUTE_PGM_RSRC2:USER_SGPR: 6
; COMPUTE_PGM_RSRC2:TRAP_HANDLER: 0
; COMPUTE_PGM_RSRC2:TGID_X_EN: 1
; COMPUTE_PGM_RSRC2:TGID_Y_EN: 0
; COMPUTE_PGM_RSRC2:TGID_Z_EN: 0
; COMPUTE_PGM_RSRC2:TIDIG_COMP_CNT: 0
	.text
	.p2alignl 6, 3214868480
	.fill 48, 4, 3214868480
	.section	.AMDGPU.gpr_maximums,"",@progbits
	.set amdgpu.max_num_vgpr, 0
	.set amdgpu.max_num_agpr, 0
	.set amdgpu.max_num_sgpr, 0
	.text
	.type	__hip_cuid_e440e235c657fe55,@object ; @__hip_cuid_e440e235c657fe55
	.section	.bss,"aw",@nobits
	.globl	__hip_cuid_e440e235c657fe55
__hip_cuid_e440e235c657fe55:
	.byte	0                               ; 0x0
	.size	__hip_cuid_e440e235c657fe55, 1

	.ident	"AMD clang version 22.0.0git (https://github.com/RadeonOpenCompute/llvm-project roc-7.2.4 26084 f58b06dce1f9c15707c5f808fd002e18c2accf7e)"
	.section	".note.GNU-stack","",@progbits
	.addrsig
	.addrsig_sym __hip_cuid_e440e235c657fe55
	.amdgpu_metadata
---
amdhsa.kernels:
  - .args:
      - .address_space:  global
        .offset:         0
        .size:           8
        .value_kind:     global_buffer
      - .offset:         8
        .size:           4
        .value_kind:     by_value
      - .offset:         12
        .size:           4
        .value_kind:     by_value
      - .offset:         16
        .size:           4
        .value_kind:     hidden_block_count_x
      - .offset:         20
        .size:           4
        .value_kind:     hidden_block_count_y
      - .offset:         24
        .size:           4
        .value_kind:     hidden_block_count_z
      - .offset:         28
        .size:           2
        .value_kind:     hidden_group_size_x
      - .offset:         30
        .size:           2
        .value_kind:     hidden_group_size_y
      - .offset:         32
        .size:           2
        .value_kind:     hidden_group_size_z
      - .offset:         34
        .size:           2
        .value_kind:     hidden_remainder_x
      - .offset:         36
        .size:           2
        .value_kind:     hidden_remainder_y
      - .offset:         38
        .size:           2
        .value_kind:     hidden_remainder_z
      - .offset:         56
        .size:           8
        .value_kind:     hidden_global_offset_x
      - .offset:         64
        .size:           8
        .value_kind:     hidden_global_offset_y
      - .offset:         72
        .size:           8
        .value_kind:     hidden_global_offset_z
      - .offset:         80
        .size:           2
        .value_kind:     hidden_grid_dims
    .group_segment_fixed_size: 0
    .kernarg_segment_align: 8
    .kernarg_segment_size: 272
    .language:       OpenCL C
    .language_version:
      - 2
      - 0
    .max_flat_workgroup_size: 1024
    .name:           _Z17initialize_bufferPffi
    .private_segment_fixed_size: 0
    .sgpr_count:     9
    .sgpr_spill_count: 0
    .symbol:         _Z17initialize_bufferPffi.kd
    .uniform_work_group_size: 1
    .uses_dynamic_stack: false
    .vgpr_count:     3
    .vgpr_spill_count: 0
    .wavefront_size: 32
    .workgroup_processor_mode: 1
  - .args:
      - .offset:         0
        .size:           4
        .value_kind:     by_value
      - .address_space:  global
        .offset:         8
        .size:           8
        .value_kind:     global_buffer
      - .address_space:  global
        .offset:         16
        .size:           8
        .value_kind:     global_buffer
      - .offset:         24
        .size:           4
        .value_kind:     hidden_block_count_x
      - .offset:         28
        .size:           4
        .value_kind:     hidden_block_count_y
      - .offset:         32
        .size:           4
        .value_kind:     hidden_block_count_z
      - .offset:         36
        .size:           2
        .value_kind:     hidden_group_size_x
      - .offset:         38
        .size:           2
        .value_kind:     hidden_group_size_y
      - .offset:         40
        .size:           2
        .value_kind:     hidden_group_size_z
      - .offset:         42
        .size:           2
        .value_kind:     hidden_remainder_x
      - .offset:         44
        .size:           2
        .value_kind:     hidden_remainder_y
      - .offset:         46
        .size:           2
        .value_kind:     hidden_remainder_z
      - .offset:         64
        .size:           8
        .value_kind:     hidden_global_offset_x
      - .offset:         72
        .size:           8
        .value_kind:     hidden_global_offset_y
      - .offset:         80
        .size:           8
        .value_kind:     hidden_global_offset_z
      - .offset:         88
        .size:           2
        .value_kind:     hidden_grid_dims
    .group_segment_fixed_size: 0
    .kernarg_segment_align: 8
    .kernarg_segment_size: 280
    .language:       OpenCL C
    .language_version:
      - 2
      - 0
    .max_flat_workgroup_size: 1024
    .name:           _Z20initialize_variablesiPfPKf
    .private_segment_fixed_size: 0
    .sgpr_count:     10
    .sgpr_spill_count: 0
    .symbol:         _Z20initialize_variablesiPfPKf.kd
    .uniform_work_group_size: 1
    .uses_dynamic_stack: false
    .vgpr_count:     5
    .vgpr_spill_count: 0
    .wavefront_size: 32
    .workgroup_processor_mode: 1
  - .args:
      - .offset:         0
        .size:           4
        .value_kind:     by_value
      - .address_space:  global
        .offset:         8
        .size:           8
        .value_kind:     global_buffer
      - .address_space:  global
        .offset:         16
        .size:           8
        .value_kind:     global_buffer
      - .address_space:  global
        .offset:         24
        .size:           8
        .value_kind:     global_buffer
      - .offset:         32
        .size:           4
        .value_kind:     hidden_block_count_x
      - .offset:         36
        .size:           4
        .value_kind:     hidden_block_count_y
      - .offset:         40
        .size:           4
        .value_kind:     hidden_block_count_z
      - .offset:         44
        .size:           2
        .value_kind:     hidden_group_size_x
      - .offset:         46
        .size:           2
        .value_kind:     hidden_group_size_y
      - .offset:         48
        .size:           2
        .value_kind:     hidden_group_size_z
      - .offset:         50
        .size:           2
        .value_kind:     hidden_remainder_x
      - .offset:         52
        .size:           2
        .value_kind:     hidden_remainder_y
      - .offset:         54
        .size:           2
        .value_kind:     hidden_remainder_z
      - .offset:         72
        .size:           8
        .value_kind:     hidden_global_offset_x
      - .offset:         80
        .size:           8
        .value_kind:     hidden_global_offset_y
      - .offset:         88
        .size:           8
        .value_kind:     hidden_global_offset_z
      - .offset:         96
        .size:           2
        .value_kind:     hidden_grid_dims
    .group_segment_fixed_size: 0
    .kernarg_segment_align: 8
    .kernarg_segment_size: 288
    .language:       OpenCL C
    .language_version:
      - 2
      - 0
    .max_flat_workgroup_size: 1024
    .name:           _Z19compute_step_factoriPfS_S_
    .private_segment_fixed_size: 0
    .sgpr_count:     12
    .sgpr_spill_count: 0
    .symbol:         _Z19compute_step_factoriPfS_S_.kd
    .uniform_work_group_size: 1
    .uses_dynamic_stack: false
    .vgpr_count:     22
    .vgpr_spill_count: 0
    .wavefront_size: 32
    .workgroup_processor_mode: 1
  - .args:
      - .offset:         0
        .size:           4
        .value_kind:     by_value
      - .address_space:  global
        .offset:         8
        .size:           8
        .value_kind:     global_buffer
      - .address_space:  global
        .offset:         16
        .size:           8
        .value_kind:     global_buffer
      - .address_space:  global
        .offset:         24
        .size:           8
        .value_kind:     global_buffer
      - .address_space:  global
        .offset:         32
        .size:           8
        .value_kind:     global_buffer
      - .address_space:  global
        .offset:         40
        .size:           8
        .value_kind:     global_buffer
      - .address_space:  global
        .offset:         48
        .size:           8
        .value_kind:     global_buffer
      - .address_space:  global
        .offset:         56
        .size:           8
        .value_kind:     global_buffer
      - .address_space:  global
        .offset:         64
        .size:           8
        .value_kind:     global_buffer
      - .address_space:  global
        .offset:         72
        .size:           8
        .value_kind:     global_buffer
      - .offset:         80
        .size:           4
        .value_kind:     hidden_block_count_x
      - .offset:         84
        .size:           4
        .value_kind:     hidden_block_count_y
      - .offset:         88
        .size:           4
        .value_kind:     hidden_block_count_z
      - .offset:         92
        .size:           2
        .value_kind:     hidden_group_size_x
      - .offset:         94
        .size:           2
        .value_kind:     hidden_group_size_y
      - .offset:         96
        .size:           2
        .value_kind:     hidden_group_size_z
      - .offset:         98
        .size:           2
        .value_kind:     hidden_remainder_x
      - .offset:         100
        .size:           2
        .value_kind:     hidden_remainder_y
      - .offset:         102
        .size:           2
        .value_kind:     hidden_remainder_z
      - .offset:         120
        .size:           8
        .value_kind:     hidden_global_offset_x
      - .offset:         128
        .size:           8
        .value_kind:     hidden_global_offset_y
      - .offset:         136
        .size:           8
        .value_kind:     hidden_global_offset_z
      - .offset:         144
        .size:           2
        .value_kind:     hidden_grid_dims
    .group_segment_fixed_size: 0
    .kernarg_segment_align: 8
    .kernarg_segment_size: 336
    .language:       OpenCL C
    .language_version:
      - 2
      - 0
    .max_flat_workgroup_size: 1024
    .name:           _Z12compute_fluxiPiPfS0_S0_S0_P6Float3S2_S2_S2_
    .private_segment_fixed_size: 0
    .sgpr_count:     44
    .sgpr_spill_count: 0
    .symbol:         _Z12compute_fluxiPiPfS0_S0_S0_P6Float3S2_S2_S2_.kd
    .uniform_work_group_size: 1
    .uses_dynamic_stack: false
    .vgpr_count:     57
    .vgpr_spill_count: 0
    .wavefront_size: 32
    .workgroup_processor_mode: 1
  - .args:
      - .offset:         0
        .size:           4
        .value_kind:     by_value
      - .offset:         4
        .size:           4
        .value_kind:     by_value
      - .address_space:  global
        .offset:         8
        .size:           8
        .value_kind:     global_buffer
      - .address_space:  global
        .offset:         16
        .size:           8
        .value_kind:     global_buffer
      - .address_space:  global
        .offset:         24
        .size:           8
        .value_kind:     global_buffer
      - .address_space:  global
        .offset:         32
        .size:           8
        .value_kind:     global_buffer
      - .offset:         40
        .size:           4
        .value_kind:     hidden_block_count_x
      - .offset:         44
        .size:           4
        .value_kind:     hidden_block_count_y
      - .offset:         48
        .size:           4
        .value_kind:     hidden_block_count_z
      - .offset:         52
        .size:           2
        .value_kind:     hidden_group_size_x
      - .offset:         54
        .size:           2
        .value_kind:     hidden_group_size_y
      - .offset:         56
        .size:           2
        .value_kind:     hidden_group_size_z
      - .offset:         58
        .size:           2
        .value_kind:     hidden_remainder_x
      - .offset:         60
        .size:           2
        .value_kind:     hidden_remainder_y
      - .offset:         62
        .size:           2
        .value_kind:     hidden_remainder_z
      - .offset:         80
        .size:           8
        .value_kind:     hidden_global_offset_x
      - .offset:         88
        .size:           8
        .value_kind:     hidden_global_offset_y
      - .offset:         96
        .size:           8
        .value_kind:     hidden_global_offset_z
      - .offset:         104
        .size:           2
        .value_kind:     hidden_grid_dims
    .group_segment_fixed_size: 0
    .kernarg_segment_align: 8
    .kernarg_segment_size: 296
    .language:       OpenCL C
    .language_version:
      - 2
      - 0
    .max_flat_workgroup_size: 1024
    .name:           _Z9time_stepiiPKfPfS0_S0_
    .private_segment_fixed_size: 0
    .sgpr_count:     14
    .sgpr_spill_count: 0
    .symbol:         _Z9time_stepiiPKfPfS0_S0_.kd
    .uniform_work_group_size: 1
    .uses_dynamic_stack: false
    .vgpr_count:     16
    .vgpr_spill_count: 0
    .wavefront_size: 32
    .workgroup_processor_mode: 1
amdhsa.target:   amdgcn-amd-amdhsa--gfx1030
amdhsa.version:
  - 1
  - 2
...

	.end_amdgpu_metadata
